;; amdgpu-corpus repo=ROCm/rocFFT kind=compiled arch=gfx906 opt=O3
	.text
	.amdgcn_target "amdgcn-amd-amdhsa--gfx906"
	.amdhsa_code_object_version 6
	.protected	fft_rtc_back_len1650_factors_11_2_3_5_5_wgs_110_tpt_110_halfLds_dp_op_CI_CI_sbrr_dirReg ; -- Begin function fft_rtc_back_len1650_factors_11_2_3_5_5_wgs_110_tpt_110_halfLds_dp_op_CI_CI_sbrr_dirReg
	.globl	fft_rtc_back_len1650_factors_11_2_3_5_5_wgs_110_tpt_110_halfLds_dp_op_CI_CI_sbrr_dirReg
	.p2align	8
	.type	fft_rtc_back_len1650_factors_11_2_3_5_5_wgs_110_tpt_110_halfLds_dp_op_CI_CI_sbrr_dirReg,@function
fft_rtc_back_len1650_factors_11_2_3_5_5_wgs_110_tpt_110_halfLds_dp_op_CI_CI_sbrr_dirReg: ; @fft_rtc_back_len1650_factors_11_2_3_5_5_wgs_110_tpt_110_halfLds_dp_op_CI_CI_sbrr_dirReg
; %bb.0:
	s_load_dwordx4 s[16:19], s[4:5], 0x18
	s_load_dwordx4 s[12:15], s[4:5], 0x0
	;; [unrolled: 1-line block ×3, first 2 shown]
	v_mul_u32_u24_e32 v1, 0x254, v0
	v_add_u32_sdwa v6, s6, v1 dst_sel:DWORD dst_unused:UNUSED_PAD src0_sel:DWORD src1_sel:WORD_1
	s_waitcnt lgkmcnt(0)
	s_load_dwordx2 s[2:3], s[16:17], 0x0
	s_load_dwordx2 s[20:21], s[18:19], 0x0
	v_cmp_lt_u64_e64 s[0:1], s[14:15], 2
	v_mov_b32_e32 v1, 0
	v_mov_b32_e32 v4, 0
	;; [unrolled: 1-line block ×3, first 2 shown]
	s_and_b64 vcc, exec, s[0:1]
	v_mov_b32_e32 v5, 0
	s_cbranch_vccnz .LBB0_8
; %bb.1:
	s_load_dwordx2 s[0:1], s[4:5], 0x10
	s_add_u32 s6, s18, 8
	s_addc_u32 s7, s19, 0
	s_add_u32 s22, s16, 8
	v_mov_b32_e32 v4, 0
	s_addc_u32 s23, s17, 0
	v_mov_b32_e32 v5, 0
	s_waitcnt lgkmcnt(0)
	s_add_u32 s24, s0, 8
	v_mov_b32_e32 v117, v5
	s_addc_u32 s25, s1, 0
	s_mov_b64 s[26:27], 1
	v_mov_b32_e32 v116, v4
.LBB0_2:                                ; =>This Inner Loop Header: Depth=1
	s_load_dwordx2 s[28:29], s[24:25], 0x0
                                        ; implicit-def: $vgpr118_vgpr119
	s_waitcnt lgkmcnt(0)
	v_or_b32_e32 v2, s29, v7
	v_cmp_ne_u64_e32 vcc, 0, v[1:2]
	s_and_saveexec_b64 s[0:1], vcc
	s_xor_b64 s[30:31], exec, s[0:1]
	s_cbranch_execz .LBB0_4
; %bb.3:                                ;   in Loop: Header=BB0_2 Depth=1
	v_cvt_f32_u32_e32 v2, s28
	v_cvt_f32_u32_e32 v3, s29
	s_sub_u32 s0, 0, s28
	s_subb_u32 s1, 0, s29
	v_mac_f32_e32 v2, 0x4f800000, v3
	v_rcp_f32_e32 v2, v2
	v_mul_f32_e32 v2, 0x5f7ffffc, v2
	v_mul_f32_e32 v3, 0x2f800000, v2
	v_trunc_f32_e32 v3, v3
	v_mac_f32_e32 v2, 0xcf800000, v3
	v_cvt_u32_f32_e32 v3, v3
	v_cvt_u32_f32_e32 v2, v2
	v_mul_lo_u32 v8, s0, v3
	v_mul_hi_u32 v9, s0, v2
	v_mul_lo_u32 v11, s1, v2
	v_mul_lo_u32 v10, s0, v2
	v_add_u32_e32 v8, v9, v8
	v_add_u32_e32 v8, v8, v11
	v_mul_hi_u32 v9, v2, v10
	v_mul_lo_u32 v11, v2, v8
	v_mul_hi_u32 v13, v2, v8
	v_mul_hi_u32 v12, v3, v10
	v_mul_lo_u32 v10, v3, v10
	v_mul_hi_u32 v14, v3, v8
	v_add_co_u32_e32 v9, vcc, v9, v11
	v_addc_co_u32_e32 v11, vcc, 0, v13, vcc
	v_mul_lo_u32 v8, v3, v8
	v_add_co_u32_e32 v9, vcc, v9, v10
	v_addc_co_u32_e32 v9, vcc, v11, v12, vcc
	v_addc_co_u32_e32 v10, vcc, 0, v14, vcc
	v_add_co_u32_e32 v8, vcc, v9, v8
	v_addc_co_u32_e32 v9, vcc, 0, v10, vcc
	v_add_co_u32_e32 v2, vcc, v2, v8
	v_addc_co_u32_e32 v3, vcc, v3, v9, vcc
	v_mul_lo_u32 v8, s0, v3
	v_mul_hi_u32 v9, s0, v2
	v_mul_lo_u32 v10, s1, v2
	v_mul_lo_u32 v11, s0, v2
	v_add_u32_e32 v8, v9, v8
	v_add_u32_e32 v8, v8, v10
	v_mul_lo_u32 v12, v2, v8
	v_mul_hi_u32 v13, v2, v11
	v_mul_hi_u32 v14, v2, v8
	;; [unrolled: 1-line block ×3, first 2 shown]
	v_mul_lo_u32 v11, v3, v11
	v_mul_hi_u32 v9, v3, v8
	v_add_co_u32_e32 v12, vcc, v13, v12
	v_addc_co_u32_e32 v13, vcc, 0, v14, vcc
	v_mul_lo_u32 v8, v3, v8
	v_add_co_u32_e32 v11, vcc, v12, v11
	v_addc_co_u32_e32 v10, vcc, v13, v10, vcc
	v_addc_co_u32_e32 v9, vcc, 0, v9, vcc
	v_add_co_u32_e32 v8, vcc, v10, v8
	v_addc_co_u32_e32 v9, vcc, 0, v9, vcc
	v_add_co_u32_e32 v8, vcc, v2, v8
	v_addc_co_u32_e32 v9, vcc, v3, v9, vcc
	v_mad_u64_u32 v[2:3], s[0:1], v6, v9, 0
	v_mul_hi_u32 v10, v6, v8
	v_add_co_u32_e32 v10, vcc, v10, v2
	v_addc_co_u32_e32 v11, vcc, 0, v3, vcc
	v_mad_u64_u32 v[2:3], s[0:1], v7, v8, 0
	v_mad_u64_u32 v[8:9], s[0:1], v7, v9, 0
	v_add_co_u32_e32 v2, vcc, v10, v2
	v_addc_co_u32_e32 v2, vcc, v11, v3, vcc
	v_addc_co_u32_e32 v3, vcc, 0, v9, vcc
	v_add_co_u32_e32 v8, vcc, v2, v8
	v_addc_co_u32_e32 v9, vcc, 0, v3, vcc
	v_mul_lo_u32 v10, s29, v8
	v_mul_lo_u32 v11, s28, v9
	v_mad_u64_u32 v[2:3], s[0:1], s28, v8, 0
	v_add3_u32 v3, v3, v11, v10
	v_sub_u32_e32 v10, v7, v3
	v_mov_b32_e32 v11, s29
	v_sub_co_u32_e32 v2, vcc, v6, v2
	v_subb_co_u32_e64 v10, s[0:1], v10, v11, vcc
	v_subrev_co_u32_e64 v11, s[0:1], s28, v2
	v_subbrev_co_u32_e64 v10, s[0:1], 0, v10, s[0:1]
	v_cmp_le_u32_e64 s[0:1], s29, v10
	v_cndmask_b32_e64 v12, 0, -1, s[0:1]
	v_cmp_le_u32_e64 s[0:1], s28, v11
	v_cndmask_b32_e64 v11, 0, -1, s[0:1]
	v_cmp_eq_u32_e64 s[0:1], s29, v10
	v_cndmask_b32_e64 v10, v12, v11, s[0:1]
	v_add_co_u32_e64 v11, s[0:1], 2, v8
	v_addc_co_u32_e64 v12, s[0:1], 0, v9, s[0:1]
	v_add_co_u32_e64 v13, s[0:1], 1, v8
	v_addc_co_u32_e64 v14, s[0:1], 0, v9, s[0:1]
	v_subb_co_u32_e32 v3, vcc, v7, v3, vcc
	v_cmp_ne_u32_e64 s[0:1], 0, v10
	v_cmp_le_u32_e32 vcc, s29, v3
	v_cndmask_b32_e64 v10, v14, v12, s[0:1]
	v_cndmask_b32_e64 v12, 0, -1, vcc
	v_cmp_le_u32_e32 vcc, s28, v2
	v_cndmask_b32_e64 v2, 0, -1, vcc
	v_cmp_eq_u32_e32 vcc, s29, v3
	v_cndmask_b32_e32 v2, v12, v2, vcc
	v_cmp_ne_u32_e32 vcc, 0, v2
	v_cndmask_b32_e64 v2, v13, v11, s[0:1]
	v_cndmask_b32_e32 v119, v9, v10, vcc
	v_cndmask_b32_e32 v118, v8, v2, vcc
.LBB0_4:                                ;   in Loop: Header=BB0_2 Depth=1
	s_andn2_saveexec_b64 s[0:1], s[30:31]
	s_cbranch_execz .LBB0_6
; %bb.5:                                ;   in Loop: Header=BB0_2 Depth=1
	v_cvt_f32_u32_e32 v2, s28
	s_sub_i32 s30, 0, s28
	v_mov_b32_e32 v119, v1
	v_rcp_iflag_f32_e32 v2, v2
	v_mul_f32_e32 v2, 0x4f7ffffe, v2
	v_cvt_u32_f32_e32 v2, v2
	v_mul_lo_u32 v3, s30, v2
	v_mul_hi_u32 v3, v2, v3
	v_add_u32_e32 v2, v2, v3
	v_mul_hi_u32 v2, v6, v2
	v_mul_lo_u32 v3, v2, s28
	v_add_u32_e32 v8, 1, v2
	v_sub_u32_e32 v3, v6, v3
	v_subrev_u32_e32 v9, s28, v3
	v_cmp_le_u32_e32 vcc, s28, v3
	v_cndmask_b32_e32 v3, v3, v9, vcc
	v_cndmask_b32_e32 v2, v2, v8, vcc
	v_add_u32_e32 v8, 1, v2
	v_cmp_le_u32_e32 vcc, s28, v3
	v_cndmask_b32_e32 v118, v2, v8, vcc
.LBB0_6:                                ;   in Loop: Header=BB0_2 Depth=1
	s_or_b64 exec, exec, s[0:1]
	v_mul_lo_u32 v8, v119, s28
	v_mul_lo_u32 v9, v118, s29
	v_mad_u64_u32 v[2:3], s[0:1], v118, s28, 0
	s_load_dwordx2 s[0:1], s[22:23], 0x0
	s_load_dwordx2 s[28:29], s[6:7], 0x0
	v_add3_u32 v3, v3, v9, v8
	v_sub_co_u32_e32 v2, vcc, v6, v2
	v_subb_co_u32_e32 v3, vcc, v7, v3, vcc
	s_waitcnt lgkmcnt(0)
	v_mul_lo_u32 v6, s0, v3
	v_mul_lo_u32 v7, s1, v2
	v_mad_u64_u32 v[4:5], s[0:1], s0, v2, v[4:5]
	v_mul_lo_u32 v3, s28, v3
	v_mul_lo_u32 v8, s29, v2
	v_mad_u64_u32 v[116:117], s[0:1], s28, v2, v[116:117]
	s_add_u32 s26, s26, 1
	s_addc_u32 s27, s27, 0
	s_add_u32 s6, s6, 8
	v_add3_u32 v117, v8, v117, v3
	s_addc_u32 s7, s7, 0
	v_mov_b32_e32 v2, s14
	s_add_u32 s22, s22, 8
	v_mov_b32_e32 v3, s15
	s_addc_u32 s23, s23, 0
	v_cmp_ge_u64_e32 vcc, s[26:27], v[2:3]
	s_add_u32 s24, s24, 8
	v_add3_u32 v5, v7, v5, v6
	s_addc_u32 s25, s25, 0
	s_cbranch_vccnz .LBB0_9
; %bb.7:                                ;   in Loop: Header=BB0_2 Depth=1
	v_mov_b32_e32 v6, v118
	v_mov_b32_e32 v7, v119
	s_branch .LBB0_2
.LBB0_8:
	v_mov_b32_e32 v117, v5
	v_mov_b32_e32 v119, v7
	;; [unrolled: 1-line block ×4, first 2 shown]
.LBB0_9:
	s_load_dwordx2 s[0:1], s[4:5], 0x28
	s_lshl_b64 s[14:15], s[14:15], 3
	s_add_u32 s4, s18, s14
	s_addc_u32 s5, s19, s15
                                        ; implicit-def: $vgpr134
	s_waitcnt lgkmcnt(0)
	v_cmp_gt_u64_e32 vcc, s[0:1], v[118:119]
	v_cmp_le_u64_e64 s[0:1], s[0:1], v[118:119]
	s_and_saveexec_b64 s[6:7], s[0:1]
	s_xor_b64 s[0:1], exec, s[6:7]
; %bb.10:
	s_mov_b32 s6, 0x253c826
	v_mul_hi_u32 v1, v0, s6
                                        ; implicit-def: $vgpr4_vgpr5
	v_mul_u32_u24_e32 v1, 0x6e, v1
	v_sub_u32_e32 v134, v0, v1
                                        ; implicit-def: $vgpr0
; %bb.11:
	s_or_saveexec_b64 s[6:7], s[0:1]
	s_load_dwordx2 s[4:5], s[4:5], 0x0
                                        ; implicit-def: $vgpr58_vgpr59
                                        ; implicit-def: $vgpr50_vgpr51
                                        ; implicit-def: $vgpr62_vgpr63
                                        ; implicit-def: $vgpr30_vgpr31
                                        ; implicit-def: $vgpr38_vgpr39
                                        ; implicit-def: $vgpr14_vgpr15
                                        ; implicit-def: $vgpr22_vgpr23
                                        ; implicit-def: $vgpr10_vgpr11
                                        ; implicit-def: $vgpr26_vgpr27
                                        ; implicit-def: $vgpr6_vgpr7
                                        ; implicit-def: $vgpr2_vgpr3
                                        ; implicit-def: $vgpr86_vgpr87
                                        ; implicit-def: $vgpr82_vgpr83
                                        ; implicit-def: $vgpr74_vgpr75
                                        ; implicit-def: $vgpr66_vgpr67
                                        ; implicit-def: $vgpr34_vgpr35
                                        ; implicit-def: $vgpr18_vgpr19
                                        ; implicit-def: $vgpr46_vgpr47
                                        ; implicit-def: $vgpr54_vgpr55
                                        ; implicit-def: $vgpr70_vgpr71
                                        ; implicit-def: $vgpr78_vgpr79
                                        ; implicit-def: $vgpr42_vgpr43
	s_xor_b64 exec, exec, s[6:7]
	s_cbranch_execz .LBB0_15
; %bb.12:
	s_add_u32 s0, s16, s14
	s_mov_b32 s14, 0x253c826
	s_addc_u32 s1, s17, s15
	v_mul_hi_u32 v1, v0, s14
	s_load_dwordx2 s[0:1], s[0:1], 0x0
                                        ; implicit-def: $vgpr24_vgpr25
                                        ; implicit-def: $vgpr20_vgpr21
                                        ; implicit-def: $vgpr12_vgpr13
                                        ; implicit-def: $vgpr36_vgpr37
                                        ; implicit-def: $vgpr28_vgpr29
                                        ; implicit-def: $vgpr60_vgpr61
                                        ; implicit-def: $vgpr48_vgpr49
                                        ; implicit-def: $vgpr56_vgpr57
	v_mul_u32_u24_e32 v1, 0x6e, v1
	v_sub_u32_e32 v134, v0, v1
	s_waitcnt lgkmcnt(0)
	v_mul_lo_u32 v8, s1, v118
	v_mad_u64_u32 v[0:1], s[14:15], s2, v134, 0
	v_mul_lo_u32 v9, s0, v119
	v_mad_u64_u32 v[2:3], s[0:1], s0, v118, 0
	v_mad_u64_u32 v[6:7], s[0:1], s3, v134, v[1:2]
	v_add3_u32 v3, v3, v9, v8
	v_lshlrev_b64 v[2:3], 4, v[2:3]
	v_mov_b32_e32 v1, v6
	v_mov_b32_e32 v6, s9
	v_add_co_u32_e64 v7, s[0:1], s8, v2
	v_add_u32_e32 v8, 0x96, v134
	v_addc_co_u32_e64 v6, s[0:1], v6, v3, s[0:1]
	v_lshlrev_b64 v[2:3], 4, v[4:5]
	v_mad_u64_u32 v[4:5], s[0:1], s2, v8, 0
	v_add_co_u32_e64 v58, s[0:1], v7, v2
	v_mov_b32_e32 v2, v5
	v_addc_co_u32_e64 v59, s[0:1], v6, v3, s[0:1]
	v_mad_u64_u32 v[2:3], s[0:1], s3, v8, v[2:3]
	v_lshlrev_b64 v[0:1], 4, v[0:1]
	v_add_u32_e32 v6, 0x12c, v134
	v_add_co_u32_e64 v0, s[0:1], v58, v0
	v_mov_b32_e32 v5, v2
	v_addc_co_u32_e64 v1, s[0:1], v59, v1, s[0:1]
	v_lshlrev_b64 v[2:3], 4, v[4:5]
	v_mad_u64_u32 v[4:5], s[0:1], s2, v6, 0
	v_add_co_u32_e64 v2, s[0:1], v58, v2
	v_addc_co_u32_e64 v3, s[0:1], v59, v3, s[0:1]
	v_mad_u64_u32 v[5:6], s[0:1], s3, v6, v[5:6]
	v_add_u32_e32 v8, 0x1c2, v134
	v_mad_u64_u32 v[6:7], s[0:1], s2, v8, 0
	global_load_dwordx4 v[40:43], v[0:1], off
	global_load_dwordx4 v[76:79], v[2:3], off
	v_lshlrev_b64 v[0:1], 4, v[4:5]
	v_mov_b32_e32 v2, v7
	v_mad_u64_u32 v[2:3], s[0:1], s3, v8, v[2:3]
	v_add_co_u32_e64 v0, s[0:1], v58, v0
	v_mov_b32_e32 v7, v2
	v_lshlrev_b64 v[2:3], 4, v[6:7]
	v_add_u32_e32 v6, 0x258, v134
	v_addc_co_u32_e64 v1, s[0:1], v59, v1, s[0:1]
	v_mad_u64_u32 v[4:5], s[0:1], s2, v6, 0
	v_add_co_u32_e64 v2, s[0:1], v58, v2
	v_addc_co_u32_e64 v3, s[0:1], v59, v3, s[0:1]
	v_mad_u64_u32 v[5:6], s[0:1], s3, v6, v[5:6]
	v_add_u32_e32 v8, 0x2ee, v134
	v_mad_u64_u32 v[6:7], s[0:1], s2, v8, 0
	global_load_dwordx4 v[68:71], v[0:1], off
	global_load_dwordx4 v[52:55], v[2:3], off
	v_lshlrev_b64 v[0:1], 4, v[4:5]
	v_mov_b32_e32 v2, v7
	v_mad_u64_u32 v[2:3], s[0:1], s3, v8, v[2:3]
	v_add_co_u32_e64 v0, s[0:1], v58, v0
	v_mov_b32_e32 v7, v2
	v_lshlrev_b64 v[2:3], 4, v[6:7]
	v_add_u32_e32 v6, 0x384, v134
	v_addc_co_u32_e64 v1, s[0:1], v59, v1, s[0:1]
	;; [unrolled: 16-line block ×3, first 2 shown]
	v_mad_u64_u32 v[4:5], s[0:1], s2, v6, 0
	v_add_co_u32_e64 v2, s[0:1], v58, v2
	v_addc_co_u32_e64 v3, s[0:1], v59, v3, s[0:1]
	v_mad_u64_u32 v[5:6], s[0:1], s3, v6, v[5:6]
	v_add_u32_e32 v8, 0x546, v134
	v_mad_u64_u32 v[6:7], s[0:1], s2, v8, 0
	global_load_dwordx4 v[32:35], v[0:1], off
	global_load_dwordx4 v[64:67], v[2:3], off
	v_lshlrev_b64 v[0:1], 4, v[4:5]
	v_mov_b32_e32 v2, v7
	v_mad_u64_u32 v[2:3], s[0:1], s3, v8, v[2:3]
	v_add_u32_e32 v8, 0x5dc, v134
	v_mad_u64_u32 v[3:4], s[0:1], s2, v8, 0
	v_add_co_u32_e64 v0, s[0:1], v58, v0
	v_mov_b32_e32 v7, v2
	v_mov_b32_e32 v2, v4
	v_addc_co_u32_e64 v1, s[0:1], v59, v1, s[0:1]
	v_lshlrev_b64 v[5:6], 4, v[6:7]
	v_mad_u64_u32 v[7:8], s[0:1], s3, v8, v[2:3]
	v_add_co_u32_e64 v4, s[0:1], v58, v5
	v_addc_co_u32_e64 v5, s[0:1], v59, v6, s[0:1]
	global_load_dwordx4 v[72:75], v[0:1], off
	global_load_dwordx4 v[80:83], v[4:5], off
	v_mov_b32_e32 v4, v7
	v_lshlrev_b64 v[0:1], 4, v[3:4]
                                        ; implicit-def: $vgpr4_vgpr5
                                        ; implicit-def: $vgpr8_vgpr9
	v_add_co_u32_e64 v0, s[0:1], v58, v0
	v_addc_co_u32_e64 v1, s[0:1], v59, v1, s[0:1]
	global_load_dwordx4 v[84:87], v[0:1], off
	v_cmp_gt_u32_e64 s[0:1], 40, v134
                                        ; implicit-def: $vgpr0_vgpr1
	s_and_saveexec_b64 s[8:9], s[0:1]
	s_cbranch_execz .LBB0_14
; %bb.13:
	v_add_u32_e32 v4, 0x6e, v134
	v_add_u32_e32 v6, 0x104, v134
	v_mad_u64_u32 v[0:1], s[0:1], s2, v4, 0
	v_mad_u64_u32 v[2:3], s[0:1], s2, v6, 0
	v_add_u32_e32 v63, 0x5b4, v134
	v_mad_u64_u32 v[4:5], s[0:1], s3, v4, v[1:2]
	v_mov_b32_e32 v1, v4
	v_mad_u64_u32 v[3:4], s[0:1], s3, v6, v[3:4]
	v_lshlrev_b64 v[0:1], 4, v[0:1]
	v_add_co_u32_e64 v8, s[0:1], v58, v0
	v_addc_co_u32_e64 v9, s[0:1], v59, v1, s[0:1]
	v_lshlrev_b64 v[0:1], 4, v[2:3]
	v_add_u32_e32 v2, 0x19a, v134
	v_mad_u64_u32 v[10:11], s[0:1], s2, v2, 0
	v_add_co_u32_e64 v12, s[0:1], v58, v0
	v_mov_b32_e32 v0, v11
	v_addc_co_u32_e64 v13, s[0:1], v59, v1, s[0:1]
	v_mad_u64_u32 v[14:15], s[0:1], s3, v2, v[0:1]
	v_add_u32_e32 v15, 0x230, v134
	v_mad_u64_u32 v[20:21], s[0:1], s2, v15, 0
	v_mov_b32_e32 v11, v14
	global_load_dwordx4 v[0:3], v[8:9], off
	global_load_dwordx4 v[4:7], v[12:13], off
	v_lshlrev_b64 v[8:9], 4, v[10:11]
	v_mov_b32_e32 v10, v21
	v_mad_u64_u32 v[10:11], s[0:1], s3, v15, v[10:11]
	v_add_co_u32_e64 v12, s[0:1], v58, v8
	v_mov_b32_e32 v21, v10
	v_add_u32_e32 v10, 0x2c6, v134
	v_addc_co_u32_e64 v13, s[0:1], v59, v9, s[0:1]
	v_mad_u64_u32 v[14:15], s[0:1], s2, v10, 0
	v_lshlrev_b64 v[8:9], 4, v[20:21]
	v_add_co_u32_e64 v20, s[0:1], v58, v8
	v_mov_b32_e32 v8, v15
	v_addc_co_u32_e64 v21, s[0:1], v59, v9, s[0:1]
	v_mad_u64_u32 v[22:23], s[0:1], s3, v10, v[8:9]
	v_add_u32_e32 v23, 0x35c, v134
	v_mad_u64_u32 v[28:29], s[0:1], s2, v23, 0
	v_mov_b32_e32 v15, v22
	global_load_dwordx4 v[24:27], v[12:13], off
	global_load_dwordx4 v[8:11], v[20:21], off
	v_lshlrev_b64 v[12:13], 4, v[14:15]
	v_mov_b32_e32 v14, v29
	v_mad_u64_u32 v[14:15], s[0:1], s3, v23, v[14:15]
	v_add_co_u32_e64 v30, s[0:1], v58, v12
	v_mov_b32_e32 v29, v14
	v_add_u32_e32 v14, 0x3f2, v134
	v_addc_co_u32_e64 v31, s[0:1], v59, v13, s[0:1]
	v_lshlrev_b64 v[12:13], 4, v[28:29]
	v_mad_u64_u32 v[28:29], s[0:1], s2, v14, 0
	v_add_co_u32_e64 v36, s[0:1], v58, v12
	v_mov_b32_e32 v12, v29
	v_addc_co_u32_e64 v37, s[0:1], v59, v13, s[0:1]
	v_mad_u64_u32 v[38:39], s[0:1], s3, v14, v[12:13]
	v_add_u32_e32 v39, 0x488, v134
	v_mad_u64_u32 v[48:49], s[0:1], s2, v39, 0
	global_load_dwordx4 v[20:23], v[30:31], off
	global_load_dwordx4 v[12:15], v[36:37], off
	v_mov_b32_e32 v29, v38
	v_mov_b32_e32 v30, v49
	v_mad_u64_u32 v[30:31], s[0:1], s3, v39, v[30:31]
	v_lshlrev_b64 v[28:29], 4, v[28:29]
	v_add_co_u32_e64 v50, s[0:1], v58, v28
	v_mov_b32_e32 v49, v30
	v_add_u32_e32 v30, 0x51e, v134
	v_addc_co_u32_e64 v51, s[0:1], v59, v29, s[0:1]
	v_lshlrev_b64 v[28:29], 4, v[48:49]
	v_mad_u64_u32 v[48:49], s[0:1], s2, v30, 0
	v_add_co_u32_e64 v56, s[0:1], v58, v28
	v_mov_b32_e32 v28, v49
	v_addc_co_u32_e64 v57, s[0:1], v59, v29, s[0:1]
	v_mad_u64_u32 v[60:61], s[0:1], s3, v30, v[28:29]
	v_mad_u64_u32 v[61:62], s[0:1], s2, v63, 0
	global_load_dwordx4 v[36:39], v[50:51], off
	global_load_dwordx4 v[28:31], v[56:57], off
	v_mov_b32_e32 v49, v60
	v_mov_b32_e32 v50, v62
	v_mad_u64_u32 v[50:51], s[0:1], s3, v63, v[50:51]
	v_add_u32_e32 v51, 0x64a, v134
	v_mad_u64_u32 v[56:57], s[0:1], s2, v51, 0
	v_lshlrev_b64 v[48:49], 4, v[48:49]
	v_mov_b32_e32 v62, v50
	v_add_co_u32_e64 v88, s[0:1], v58, v48
	v_mov_b32_e32 v50, v57
	v_addc_co_u32_e64 v89, s[0:1], v59, v49, s[0:1]
	v_mad_u64_u32 v[90:91], s[0:1], s3, v51, v[50:51]
	v_lshlrev_b64 v[48:49], 4, v[61:62]
	v_mov_b32_e32 v57, v90
	v_add_co_u32_e64 v91, s[0:1], v58, v48
	v_lshlrev_b64 v[56:57], 4, v[56:57]
	v_addc_co_u32_e64 v92, s[0:1], v59, v49, s[0:1]
	v_add_co_u32_e64 v56, s[0:1], v58, v56
	v_addc_co_u32_e64 v57, s[0:1], v59, v57, s[0:1]
	global_load_dwordx4 v[60:63], v[88:89], off
	global_load_dwordx4 v[48:51], v[91:92], off
	s_nop 0
	global_load_dwordx4 v[56:59], v[56:57], off
.LBB0_14:
	s_or_b64 exec, exec, s[8:9]
.LBB0_15:
	s_or_b64 exec, exec, s[6:7]
	s_waitcnt vmcnt(0)
	v_add_f64 v[88:89], v[78:79], -v[86:87]
	s_mov_b32 s0, 0xf8bb580b
	s_mov_b32 s14, 0x8eee2c13
	;; [unrolled: 1-line block ×4, first 2 shown]
	v_add_f64 v[90:91], v[84:85], v[76:77]
	v_add_f64 v[106:107], v[70:71], -v[82:83]
	s_mov_b32 s16, 0x8764f0ba
	v_mul_f64 v[92:93], v[88:89], s[0:1]
	v_mul_f64 v[94:95], v[88:89], s[14:15]
	s_mov_b32 s6, 0x43842ef
	s_mov_b32 s22, 0xd9c712b6
	;; [unrolled: 1-line block ×9, first 2 shown]
	v_mul_f64 v[96:97], v[88:89], s[6:7]
	v_fma_f64 v[98:99], v[90:91], s[16:17], v[92:93]
	v_fma_f64 v[92:93], v[90:91], s[16:17], -v[92:93]
	v_fma_f64 v[100:101], v[90:91], s[22:23], v[94:95]
	v_mul_f64 v[104:105], v[88:89], s[8:9]
	v_add_f64 v[110:111], v[80:81], v[68:69]
	v_mul_f64 v[112:113], v[106:107], s[14:15]
	v_mul_f64 v[88:89], v[88:89], s[24:25]
	;; [unrolled: 1-line block ×3, first 2 shown]
	s_mov_b32 s18, 0x640f44db
	s_mov_b32 s28, 0x7f775887
	;; [unrolled: 1-line block ×8, first 2 shown]
	v_fma_f64 v[94:95], v[90:91], s[22:23], -v[94:95]
	v_fma_f64 v[102:103], v[90:91], s[18:19], v[96:97]
	v_add_f64 v[98:99], v[40:41], v[98:99]
	v_add_f64 v[92:93], v[40:41], v[92:93]
	v_fma_f64 v[96:97], v[90:91], s[18:19], -v[96:97]
	v_add_f64 v[100:101], v[40:41], v[100:101]
	v_fma_f64 v[108:109], v[90:91], s[28:29], v[104:105]
	v_fma_f64 v[104:105], v[90:91], s[28:29], -v[104:105]
	v_fma_f64 v[120:121], v[110:111], s[22:23], v[112:113]
	v_fma_f64 v[112:113], v[110:111], s[22:23], -v[112:113]
	;; [unrolled: 2-line block ×3, first 2 shown]
	v_fma_f64 v[90:91], v[110:111], s[28:29], v[114:115]
	v_mul_f64 v[124:125], v[106:107], s[26:27]
	s_mov_b32 s37, 0x3fefac9e
	s_mov_b32 s36, s6
	;; [unrolled: 1-line block ×4, first 2 shown]
	v_add_f64 v[94:95], v[40:41], v[94:95]
	v_add_f64 v[102:103], v[40:41], v[102:103]
	;; [unrolled: 1-line block ×5, first 2 shown]
	v_mul_f64 v[112:113], v[106:107], s[36:37]
	v_fma_f64 v[114:115], v[110:111], s[28:29], -v[114:115]
	v_add_f64 v[90:91], v[90:91], v[100:101]
	v_fma_f64 v[100:101], v[110:111], s[30:31], v[124:125]
	v_fma_f64 v[120:121], v[110:111], s[30:31], -v[124:125]
	v_add_f64 v[124:125], v[54:55], -v[74:75]
	v_mul_f64 v[106:107], v[106:107], s[34:35]
	v_add_f64 v[108:109], v[40:41], v[108:109]
	v_add_f64 v[104:105], v[40:41], v[104:105]
	v_fma_f64 v[126:127], v[110:111], s[18:19], v[112:113]
	v_add_f64 v[94:95], v[114:115], v[94:95]
	v_add_f64 v[114:115], v[40:41], v[122:123]
	v_fma_f64 v[112:113], v[110:111], s[18:19], -v[112:113]
	v_add_f64 v[100:101], v[100:101], v[102:103]
	v_add_f64 v[102:103], v[72:73], v[52:53]
	v_mul_f64 v[122:123], v[124:125], s[6:7]
	v_add_f64 v[96:97], v[120:121], v[96:97]
	v_fma_f64 v[120:121], v[110:111], s[16:17], v[106:107]
	v_add_f64 v[88:89], v[40:41], v[88:89]
	v_fma_f64 v[106:107], v[110:111], s[16:17], -v[106:107]
	v_mul_f64 v[110:111], v[124:125], s[26:27]
	s_mov_b32 s39, 0x3fed1bb4
	s_mov_b32 s38, s14
	v_add_f64 v[108:109], v[126:127], v[108:109]
	v_add_f64 v[104:105], v[112:113], v[104:105]
	v_fma_f64 v[112:113], v[102:103], s[18:19], v[122:123]
	v_mul_f64 v[126:127], v[124:125], s[38:39]
	v_fma_f64 v[122:123], v[102:103], s[18:19], -v[122:123]
	v_add_f64 v[88:89], v[106:107], v[88:89]
	v_fma_f64 v[106:107], v[102:103], s[30:31], v[110:111]
	v_add_f64 v[114:115], v[120:121], v[114:115]
	v_fma_f64 v[110:111], v[102:103], s[30:31], -v[110:111]
	v_add_f64 v[40:41], v[76:77], v[40:41]
	v_add_f64 v[98:99], v[112:113], v[98:99]
	v_mul_f64 v[112:113], v[124:125], s[0:1]
	v_fma_f64 v[120:121], v[102:103], s[22:23], v[126:127]
	v_add_f64 v[92:93], v[122:123], v[92:93]
	v_fma_f64 v[122:123], v[102:103], s[22:23], -v[126:127]
	v_add_f64 v[126:127], v[46:47], -v[66:67]
	v_add_f64 v[90:91], v[106:107], v[90:91]
	v_mul_f64 v[106:107], v[124:125], s[8:9]
	v_add_f64 v[94:95], v[110:111], v[94:95]
	v_fma_f64 v[110:111], v[102:103], s[16:17], v[112:113]
	v_add_f64 v[100:101], v[120:121], v[100:101]
	v_fma_f64 v[112:113], v[102:103], s[16:17], -v[112:113]
	v_add_f64 v[120:121], v[64:65], v[44:45]
	v_mul_f64 v[124:125], v[126:127], s[8:9]
	v_add_f64 v[96:97], v[122:123], v[96:97]
	v_fma_f64 v[122:123], v[102:103], s[28:29], v[106:107]
	v_mul_f64 v[128:129], v[126:127], s[36:37]
	v_fma_f64 v[102:103], v[102:103], s[28:29], -v[106:107]
	v_add_f64 v[40:41], v[68:69], v[40:41]
	v_add_f64 v[106:107], v[110:111], v[108:109]
	;; [unrolled: 1-line block ×3, first 2 shown]
	v_fma_f64 v[108:109], v[120:121], s[28:29], v[124:125]
	v_fma_f64 v[110:111], v[120:121], s[28:29], -v[124:125]
	v_add_f64 v[112:113], v[122:123], v[114:115]
	v_fma_f64 v[114:115], v[120:121], s[18:19], v[128:129]
	v_add_f64 v[88:89], v[102:103], v[88:89]
	v_mul_f64 v[102:103], v[126:127], s[0:1]
	v_fma_f64 v[122:123], v[120:121], s[18:19], -v[128:129]
	v_add_f64 v[40:41], v[52:53], v[40:41]
	v_add_f64 v[98:99], v[108:109], v[98:99]
	;; [unrolled: 1-line block ×3, first 2 shown]
	v_mul_f64 v[92:93], v[126:127], s[24:25]
	v_add_f64 v[110:111], v[114:115], v[90:91]
	v_add_f64 v[114:115], v[18:19], -v[34:35]
	v_fma_f64 v[90:91], v[120:121], s[16:17], v[102:103]
	v_add_f64 v[122:123], v[122:123], v[94:95]
	v_mul_f64 v[94:95], v[126:127], s[38:39]
	v_fma_f64 v[102:103], v[120:121], s[16:17], -v[102:103]
	v_add_f64 v[40:41], v[44:45], v[40:41]
	v_add_f64 v[135:136], v[32:33], v[16:17]
	v_fma_f64 v[124:125], v[120:121], s[30:31], v[92:93]
	v_mul_f64 v[126:127], v[114:115], s[24:25]
	v_add_f64 v[128:129], v[90:91], v[100:101]
	v_fma_f64 v[92:93], v[120:121], s[30:31], -v[92:93]
	v_fma_f64 v[90:91], v[120:121], s[22:23], v[94:95]
	v_add_f64 v[132:133], v[102:103], v[96:97]
	v_add_f64 v[96:97], v[16:17], v[40:41]
	v_fma_f64 v[94:95], v[120:121], s[22:23], -v[94:95]
	v_mul_f64 v[102:103], v[114:115], s[34:35]
	v_add_f64 v[40:41], v[56:57], v[4:5]
	v_fma_f64 v[100:101], v[135:136], s[30:31], v[126:127]
	v_add_f64 v[120:121], v[92:93], v[104:105]
	v_add_f64 v[139:140], v[90:91], v[112:113]
	;; [unrolled: 1-line block ×4, first 2 shown]
	v_fma_f64 v[96:97], v[135:136], s[30:31], -v[126:127]
	v_add_f64 v[141:142], v[94:95], v[88:89]
	v_fma_f64 v[94:95], v[135:136], s[16:17], v[102:103]
	v_add_f64 v[88:89], v[6:7], -v[58:59]
	v_mul_f64 v[92:93], v[40:41], s[18:19]
	v_add_f64 v[143:144], v[100:101], v[98:99]
	v_fma_f64 v[102:103], v[135:136], s[16:17], -v[102:103]
	v_add_f64 v[112:113], v[64:65], v[90:91]
	v_add_f64 v[90:91], v[48:49], v[24:25]
	;; [unrolled: 1-line block ×3, first 2 shown]
	v_mul_f64 v[96:97], v[40:41], s[28:29]
	v_add_f64 v[149:150], v[94:95], v[110:111]
	v_fma_f64 v[108:109], v[88:89], s[6:7], v[92:93]
	v_add_f64 v[94:95], v[26:27], -v[50:51]
	v_add_f64 v[100:101], v[60:61], v[8:9]
	v_mul_f64 v[104:105], v[114:115], s[8:9]
	v_mul_f64 v[98:99], v[90:91], s[30:31]
	;; [unrolled: 1-line block ×3, first 2 shown]
	v_fma_f64 v[110:111], v[88:89], s[8:9], v[96:97]
	v_add_f64 v[153:154], v[102:103], v[122:123]
	v_add_f64 v[122:123], v[0:1], v[108:109]
	v_add_f64 v[102:103], v[10:11], -v[62:63]
	v_mul_f64 v[108:109], v[100:101], s[22:23]
	v_mul_f64 v[124:125], v[100:101], s[16:17]
	v_fma_f64 v[126:127], v[94:95], s[26:27], v[98:99]
	v_fma_f64 v[155:156], v[94:95], s[36:37], v[106:107]
	v_add_f64 v[130:131], v[0:1], v[110:111]
	v_add_f64 v[110:111], v[28:29], v[20:21]
	v_mul_f64 v[147:148], v[114:115], s[38:39]
	v_fma_f64 v[151:152], v[135:136], s[28:29], v[104:105]
	v_add_f64 v[112:113], v[72:73], v[112:113]
	v_fma_f64 v[157:158], v[135:136], s[28:29], -v[104:105]
	v_mul_f64 v[161:162], v[114:115], s[6:7]
	v_add_f64 v[122:123], v[126:127], v[122:123]
	v_fma_f64 v[163:164], v[102:103], s[38:39], v[108:109]
	v_add_f64 v[155:156], v[155:156], v[130:131]
	v_fma_f64 v[165:166], v[102:103], s[0:1], v[124:125]
	v_add_f64 v[104:105], v[22:23], -v[30:31]
	v_mul_f64 v[126:127], v[110:111], s[16:17]
	v_mul_f64 v[130:131], v[110:111], s[30:31]
	v_add_f64 v[114:115], v[36:37], v[12:13]
	v_fma_f64 v[159:160], v[135:136], s[22:23], v[147:148]
	v_add_f64 v[151:152], v[151:152], v[128:129]
	v_add_f64 v[167:168], v[80:81], v[112:113]
	;; [unrolled: 1-line block ×5, first 2 shown]
	v_fma_f64 v[163:164], v[104:105], s[0:1], v[126:127]
	v_fma_f64 v[165:166], v[104:105], s[24:25], v[130:131]
	v_add_f64 v[112:113], v[14:15], -v[38:39]
	v_mul_f64 v[128:129], v[114:115], s[28:29]
	v_mul_f64 v[132:133], v[114:115], s[22:23]
	v_add_f64 v[137:138], v[159:160], v[137:138]
	v_fma_f64 v[147:148], v[135:136], s[22:23], -v[147:148]
	v_fma_f64 v[159:160], v[135:136], s[18:19], v[161:162]
	v_fma_f64 v[135:136], v[135:136], s[18:19], -v[161:162]
	v_add_f64 v[122:123], v[163:164], v[122:123]
	v_add_f64 v[155:156], v[165:166], v[155:156]
	v_fma_f64 v[161:162], v[112:113], s[8:9], v[128:129]
	v_fma_f64 v[163:164], v[112:113], s[38:39], v[132:133]
	v_add_f64 v[165:166], v[84:85], v[167:168]
	v_add_f64 v[147:148], v[147:148], v[120:121]
	;; [unrolled: 1-line block ×4, first 2 shown]
	s_movk_i32 s2, 0x58
	v_mad_u32_u24 v135, v134, s2, 0
	v_add_f64 v[122:123], v[161:162], v[122:123]
	v_add_f64 v[120:121], v[163:164], v[155:156]
	v_cmp_gt_u32_e64 s[2:3], 40, v134
	ds_write2_b64 v135, v[165:166], v[143:144] offset1:1
	ds_write2_b64 v135, v[149:150], v[151:152] offset0:2 offset1:3
	ds_write2_b64 v135, v[137:138], v[139:140] offset0:4 offset1:5
	;; [unrolled: 1-line block ×4, first 2 shown]
	ds_write_b64 v135, v[145:146] offset:80
	s_and_saveexec_b64 s[40:41], s[2:3]
	s_cbranch_execz .LBB0_17
; %bb.16:
	v_mul_f64 v[138:139], v[88:89], s[6:7]
	v_mul_f64 v[140:141], v[88:89], s[8:9]
	;; [unrolled: 1-line block ×8, first 2 shown]
	v_add_f64 v[92:93], v[92:93], -v[138:139]
	v_add_f64 v[96:97], v[96:97], -v[140:141]
	v_fma_f64 v[152:153], v[88:89], s[26:27], v[136:137]
	v_mul_f64 v[156:157], v[104:105], s[24:25]
	v_add_f64 v[170:171], v[4:5], v[0:1]
	v_add_f64 v[106:107], v[106:107], -v[144:145]
	v_add_f64 v[98:99], v[98:99], -v[142:143]
	v_mul_f64 v[154:155], v[104:105], s[0:1]
	v_add_f64 v[92:93], v[0:1], v[92:93]
	v_add_f64 v[96:97], v[0:1], v[96:97]
	v_mul_f64 v[164:165], v[100:101], s[28:29]
	v_fma_f64 v[166:167], v[94:95], s[0:1], v[150:151]
	v_add_f64 v[152:153], v[0:1], v[152:153]
	v_add_f64 v[124:125], v[124:125], -v[148:149]
	v_add_f64 v[108:109], v[108:109], -v[146:147]
	s_mov_b32 s43, 0x3fe82f19
	v_add_f64 v[92:93], v[98:99], v[92:93]
	v_add_f64 v[96:97], v[106:107], v[96:97]
	v_add_f64 v[98:99], v[130:131], -v[156:157]
	v_add_f64 v[130:131], v[24:25], v[170:171]
	s_mov_b32 s42, s8
	v_mul_f64 v[160:161], v[112:113], s[38:39]
	v_mul_f64 v[168:169], v[110:111], s[22:23]
	v_fma_f64 v[136:137], v[88:89], s[24:25], v[136:137]
	v_fma_f64 v[172:173], v[102:103], s[42:43], v[164:165]
	v_add_f64 v[140:141], v[166:167], v[152:153]
	v_add_f64 v[96:97], v[124:125], v[96:97]
	v_mul_f64 v[124:125], v[40:41], s[22:23]
	v_add_f64 v[126:127], v[126:127], -v[154:155]
	v_add_f64 v[92:93], v[108:109], v[92:93]
	v_add_f64 v[130:131], v[8:9], v[130:131]
	v_fma_f64 v[150:151], v[94:95], s[34:35], v[150:151]
	v_add_f64 v[136:137], v[0:1], v[136:137]
	v_fma_f64 v[138:139], v[104:105], s[14:15], v[168:169]
	v_add_f64 v[140:141], v[172:173], v[140:141]
	v_add_f64 v[108:109], v[132:133], -v[160:161]
	v_add_f64 v[96:97], v[98:99], v[96:97]
	v_mul_f64 v[98:99], v[90:91], s[28:29]
	v_fma_f64 v[132:133], v[88:89], s[38:39], v[124:125]
	v_add_f64 v[92:93], v[126:127], v[92:93]
	v_mul_f64 v[40:41], v[40:41], s[16:17]
	v_add_f64 v[126:127], v[20:21], v[130:131]
	v_fma_f64 v[144:145], v[102:103], s[8:9], v[164:165]
	v_add_f64 v[136:137], v[150:151], v[136:137]
	v_add_f64 v[106:107], v[138:139], v[140:141]
	v_fma_f64 v[140:141], v[94:95], s[42:43], v[98:99]
	v_add_f64 v[132:133], v[0:1], v[132:133]
	v_mul_f64 v[90:91], v[90:91], s[22:23]
	v_fma_f64 v[148:149], v[88:89], s[0:1], v[40:41]
	v_add_f64 v[126:127], v[12:13], v[126:127]
	v_fma_f64 v[124:125], v[88:89], s[14:15], v[124:125]
	v_fma_f64 v[40:41], v[88:89], s[34:35], v[40:41]
	;; [unrolled: 1-line block ×3, first 2 shown]
	v_add_f64 v[136:137], v[144:145], v[136:137]
	v_mul_f64 v[130:131], v[100:101], s[30:31]
	v_add_f64 v[132:133], v[140:141], v[132:133]
	v_mul_f64 v[100:101], v[100:101], s[18:19]
	v_fma_f64 v[88:89], v[94:95], s[14:15], v[90:91]
	v_add_f64 v[140:141], v[0:1], v[148:149]
	v_add_f64 v[126:127], v[36:37], v[126:127]
	v_fma_f64 v[98:99], v[94:95], s[8:9], v[98:99]
	v_add_f64 v[124:125], v[0:1], v[124:125]
	v_fma_f64 v[90:91], v[94:95], s[38:39], v[90:91]
	v_add_f64 v[0:1], v[0:1], v[40:41]
	v_add_f64 v[136:137], v[138:139], v[136:137]
	v_mul_f64 v[138:139], v[110:111], s[18:19]
	v_mul_f64 v[110:111], v[110:111], s[28:29]
	v_fma_f64 v[40:41], v[102:103], s[6:7], v[100:101]
	v_add_f64 v[88:89], v[88:89], v[140:141]
	v_add_f64 v[94:95], v[28:29], v[126:127]
	v_fma_f64 v[126:127], v[102:103], s[26:27], v[130:131]
	v_add_f64 v[98:99], v[98:99], v[124:125]
	v_fma_f64 v[150:151], v[102:103], s[24:25], v[130:131]
	v_fma_f64 v[100:101], v[102:103], s[36:37], v[100:101]
	v_add_f64 v[0:1], v[90:91], v[0:1]
	v_mul_f64 v[162:163], v[114:115], s[18:19]
	v_mul_f64 v[144:145], v[114:115], s[16:17]
	;; [unrolled: 1-line block ×3, first 2 shown]
	v_fma_f64 v[90:91], v[104:105], s[8:9], v[110:111]
	v_add_f64 v[40:41], v[40:41], v[88:89]
	v_add_f64 v[88:89], v[60:61], v[94:95]
	v_fma_f64 v[94:95], v[104:105], s[36:37], v[138:139]
	v_add_f64 v[98:99], v[126:127], v[98:99]
	v_mul_f64 v[158:159], v[112:113], s[8:9]
	v_fma_f64 v[146:147], v[104:105], s[6:7], v[138:139]
	v_add_f64 v[102:103], v[150:151], v[132:133]
	v_fma_f64 v[104:105], v[104:105], s[42:43], v[110:111]
	v_add_f64 v[0:1], v[100:101], v[0:1]
	v_fma_f64 v[100:101], v[112:113], s[24:25], v[114:115]
	v_add_f64 v[40:41], v[90:91], v[40:41]
	v_add_f64 v[88:89], v[48:49], v[88:89]
	v_fma_f64 v[90:91], v[112:113], s[34:35], v[144:145]
	v_add_f64 v[94:95], v[94:95], v[98:99]
	v_fma_f64 v[142:143], v[112:113], s[6:7], v[162:163]
	v_fma_f64 v[152:153], v[112:113], s[36:37], v[162:163]
	v_add_f64 v[128:129], v[128:129], -v[158:159]
	v_fma_f64 v[98:99], v[112:113], s[0:1], v[144:145]
	v_add_f64 v[102:103], v[146:147], v[102:103]
	v_fma_f64 v[110:111], v[112:113], s[26:27], v[114:115]
	v_add_f64 v[0:1], v[104:105], v[0:1]
	v_add_f64 v[40:41], v[100:101], v[40:41]
	;; [unrolled: 1-line block ×10, first 2 shown]
	v_add_u32_e32 v98, 0x25d0, v135
	ds_write2_b64 v98, v[88:89], v[40:41] offset1:1
	v_add_u32_e32 v40, 0x25e0, v135
	ds_write2_b64 v40, v[90:91], v[122:123] offset1:1
	;; [unrolled: 2-line block ×5, first 2 shown]
	ds_write_b64 v135, v[0:1] offset:9760
.LBB0_17:
	s_or_b64 exec, exec, s[40:41]
	s_movk_i32 s0, 0xffb0
	v_mad_i32_i24 v124, v134, s0, v135
	v_add_u32_e32 v0, 0x1400, v124
	s_waitcnt lgkmcnt(0)
	s_barrier
	ds_read2_b64 v[100:103], v0 offset0:20 offset1:185
	v_add_u32_e32 v0, 0x1c00, v124
	ds_read2_b64 v[88:91], v0 offset0:39 offset1:149
	v_add_u32_e32 v0, 0x400, v124
	;; [unrolled: 2-line block ×5, first 2 shown]
	ds_read2_b64 v[104:107], v124 offset1:110
	ds_read2_b64 v[96:99], v0 offset0:95 offset1:205
	v_cmp_gt_u32_e64 s[0:1], 55, v134
	s_and_saveexec_b64 s[6:7], s[0:1]
	s_cbranch_execz .LBB0_19
; %bb.18:
	ds_read_b64 v[122:123], v124 offset:6160
	ds_read_b64 v[120:121], v124 offset:12760
.LBB0_19:
	s_or_b64 exec, exec, s[6:7]
	v_add_f64 v[0:1], v[78:79], v[42:43]
	v_add_f64 v[76:77], v[76:77], -v[84:85]
	s_mov_b32 s30, 0xf8bb580b
	s_mov_b32 s31, 0xbfe14ced
	v_add_f64 v[40:41], v[86:87], v[78:79]
	v_add_f64 v[68:69], v[68:69], -v[80:81]
	s_mov_b32 s6, 0x8764f0ba
	s_mov_b32 s28, 0x8eee2c13
	v_add_f64 v[0:1], v[70:71], v[0:1]
	v_mul_f64 v[78:79], v[76:77], s[30:31]
	s_mov_b32 s14, 0x43842ef
	s_mov_b32 s26, 0xbb3a28a1
	;; [unrolled: 1-line block ×6, first 2 shown]
	v_add_f64 v[0:1], v[54:55], v[0:1]
	s_mov_b32 s27, 0xbfe82f19
	s_mov_b32 s23, 0xbfd207e7
	v_add_f64 v[70:71], v[82:83], v[70:71]
	v_mul_f64 v[80:81], v[76:77], s[28:29]
	v_mul_f64 v[84:85], v[76:77], s[14:15]
	;; [unrolled: 1-line block ×4, first 2 shown]
	v_add_f64 v[0:1], v[46:47], v[0:1]
	v_mul_f64 v[127:128], v[68:69], s[28:29]
	v_fma_f64 v[138:139], v[40:41], s[6:7], -v[78:79]
	v_fma_f64 v[78:79], v[40:41], s[6:7], v[78:79]
	s_mov_b32 s16, 0xd9c712b6
	s_mov_b32 s8, 0x640f44db
	;; [unrolled: 1-line block ×4, first 2 shown]
	v_add_f64 v[0:1], v[18:19], v[0:1]
	s_mov_b32 s17, 0x3fda9628
	s_mov_b32 s9, 0xbfc2375f
	;; [unrolled: 1-line block ×4, first 2 shown]
	v_mul_f64 v[129:130], v[68:69], s[26:27]
	v_fma_f64 v[140:141], v[40:41], s[16:17], -v[80:81]
	v_fma_f64 v[80:81], v[40:41], s[16:17], v[80:81]
	v_add_f64 v[0:1], v[34:35], v[0:1]
	v_fma_f64 v[142:143], v[40:41], s[8:9], -v[84:85]
	v_fma_f64 v[84:85], v[40:41], s[8:9], v[84:85]
	v_fma_f64 v[144:145], v[40:41], s[24:25], -v[125:126]
	v_fma_f64 v[125:126], v[40:41], s[24:25], v[125:126]
	v_fma_f64 v[146:147], v[40:41], s[18:19], -v[76:77]
	v_fma_f64 v[40:41], v[40:41], s[18:19], v[76:77]
	v_fma_f64 v[76:77], v[70:71], s[16:17], -v[127:128]
	v_add_f64 v[0:1], v[66:67], v[0:1]
	v_fma_f64 v[127:128], v[70:71], s[16:17], v[127:128]
	v_add_f64 v[138:139], v[42:43], v[138:139]
	v_add_f64 v[78:79], v[42:43], v[78:79]
	v_add_f64 v[52:53], v[52:53], -v[72:73]
	s_mov_b32 s39, 0x3fd207e7
	s_mov_b32 s38, s22
	;; [unrolled: 1-line block ×3, first 2 shown]
	v_add_f64 v[0:1], v[74:75], v[0:1]
	s_mov_b32 s34, s30
	v_mul_f64 v[131:132], v[68:69], s[38:39]
	v_mul_f64 v[136:137], v[68:69], s[36:37]
	v_fma_f64 v[148:149], v[70:71], s[24:25], -v[129:130]
	v_fma_f64 v[129:130], v[70:71], s[24:25], v[129:130]
	v_add_f64 v[140:141], v[42:43], v[140:141]
	v_add_f64 v[80:81], v[42:43], v[80:81]
	;; [unrolled: 1-line block ×12, first 2 shown]
	v_mul_f64 v[0:1], v[68:69], s[34:35]
	v_add_f64 v[54:55], v[74:75], v[54:55]
	v_mul_f64 v[74:75], v[52:53], s[14:15]
	v_fma_f64 v[72:73], v[70:71], s[18:19], -v[131:132]
	v_add_f64 v[80:81], v[129:130], v[80:81]
	v_fma_f64 v[86:87], v[70:71], s[18:19], v[131:132]
	v_fma_f64 v[127:128], v[70:71], s[8:9], -v[136:137]
	v_fma_f64 v[129:130], v[70:71], s[8:9], v[136:137]
	v_fma_f64 v[131:132], v[70:71], s[6:7], -v[0:1]
	v_mul_f64 v[136:137], v[52:53], s[38:39]
	v_fma_f64 v[0:1], v[70:71], s[6:7], v[0:1]
	v_fma_f64 v[70:71], v[54:55], s[8:9], -v[74:75]
	s_mov_b32 s41, 0x3fed1bb4
	s_mov_b32 s40, s28
	v_add_f64 v[82:83], v[86:87], v[82:83]
	v_add_f64 v[86:87], v[129:130], v[125:126]
	;; [unrolled: 1-line block ×3, first 2 shown]
	v_fma_f64 v[74:75], v[54:55], s[8:9], v[74:75]
	v_mul_f64 v[129:130], v[52:53], s[40:41]
	v_fma_f64 v[131:132], v[54:55], s[18:19], v[136:137]
	v_add_f64 v[0:1], v[0:1], v[40:41]
	v_add_f64 v[40:41], v[70:71], v[42:43]
	v_mul_f64 v[42:43], v[52:53], s[30:31]
	v_add_f64 v[68:69], v[148:149], v[140:141]
	v_add_f64 v[72:73], v[72:73], v[142:143]
	;; [unrolled: 1-line block ×3, first 2 shown]
	v_fma_f64 v[127:128], v[54:55], s[18:19], -v[136:137]
	v_add_f64 v[70:71], v[74:75], v[76:77]
	v_add_f64 v[44:45], v[44:45], -v[64:65]
	v_fma_f64 v[64:65], v[54:55], s[16:17], -v[129:130]
	v_add_f64 v[74:75], v[131:132], v[80:81]
	v_mul_f64 v[52:53], v[52:53], s[26:27]
	v_fma_f64 v[80:81], v[54:55], s[6:7], -v[42:43]
	v_fma_f64 v[42:43], v[54:55], s[6:7], v[42:43]
	v_add_f64 v[68:69], v[127:128], v[68:69]
	v_fma_f64 v[76:77], v[54:55], s[16:17], v[129:130]
	v_add_f64 v[46:47], v[66:67], v[46:47]
	v_mul_f64 v[66:67], v[44:45], s[26:27]
	v_add_f64 v[64:65], v[64:65], v[72:73]
	v_mul_f64 v[72:73], v[44:45], s[36:37]
	v_fma_f64 v[127:128], v[54:55], s[24:25], -v[52:53]
	v_fma_f64 v[52:53], v[54:55], s[24:25], v[52:53]
	v_add_f64 v[42:43], v[42:43], v[86:87]
	v_mul_f64 v[86:87], v[44:45], s[30:31]
	v_add_f64 v[76:77], v[76:77], v[82:83]
	v_add_f64 v[54:55], v[80:81], v[84:85]
	v_fma_f64 v[80:81], v[46:47], s[24:25], -v[66:67]
	v_fma_f64 v[82:83], v[46:47], s[8:9], -v[72:73]
	v_add_f64 v[84:85], v[127:128], v[125:126]
	v_add_f64 v[0:1], v[52:53], v[0:1]
	v_fma_f64 v[52:53], v[46:47], s[8:9], v[72:73]
	v_mul_f64 v[72:73], v[44:45], s[22:23]
	v_add_f64 v[125:126], v[16:17], -v[32:33]
	v_fma_f64 v[16:17], v[46:47], s[6:7], -v[86:87]
	v_mul_f64 v[44:45], v[44:45], s[40:41]
	v_fma_f64 v[66:67], v[46:47], s[24:25], v[66:67]
	v_add_f64 v[80:81], v[80:81], v[40:41]
	v_add_f64 v[82:83], v[82:83], v[68:69]
	v_fma_f64 v[32:33], v[46:47], s[6:7], v[86:87]
	v_add_f64 v[74:75], v[52:53], v[74:75]
	v_fma_f64 v[40:41], v[46:47], s[18:19], -v[72:73]
	v_fma_f64 v[52:53], v[46:47], s[18:19], v[72:73]
	v_add_f64 v[72:73], v[34:35], v[18:19]
	v_mul_f64 v[18:19], v[125:126], s[22:23]
	v_add_f64 v[64:65], v[16:17], v[64:65]
	v_add_f64 v[68:69], v[4:5], -v[56:57]
	v_fma_f64 v[16:17], v[46:47], s[16:17], v[44:45]
	v_add_f64 v[70:71], v[66:67], v[70:71]
	v_add_f64 v[76:77], v[32:33], v[76:77]
	;; [unrolled: 1-line block ×3, first 2 shown]
	v_fma_f64 v[4:5], v[46:47], s[16:17], -v[44:45]
	v_add_f64 v[127:128], v[52:53], v[42:43]
	v_fma_f64 v[32:33], v[72:73], s[18:19], -v[18:19]
	v_fma_f64 v[18:19], v[72:73], s[18:19], v[18:19]
	v_add_f64 v[34:35], v[58:59], v[6:7]
	v_mul_f64 v[40:41], v[68:69], s[14:15]
	v_mul_f64 v[42:43], v[68:69], s[26:27]
	v_add_f64 v[66:67], v[24:25], -v[48:49]
	v_add_f64 v[129:130], v[16:17], v[0:1]
	v_mul_f64 v[0:1], v[125:126], s[34:35]
	v_add_f64 v[84:85], v[4:5], v[84:85]
	v_add_f64 v[131:132], v[18:19], v[70:71]
	;; [unrolled: 1-line block ×3, first 2 shown]
	v_fma_f64 v[4:5], v[34:35], s[8:9], -v[40:41]
	v_fma_f64 v[16:17], v[34:35], s[24:25], -v[42:43]
	v_mul_f64 v[46:47], v[66:67], s[38:39]
	v_mul_f64 v[48:49], v[66:67], s[36:37]
	v_fma_f64 v[18:19], v[72:73], s[6:7], -v[0:1]
	v_add_f64 v[56:57], v[8:9], -v[60:61]
	v_add_f64 v[80:81], v[32:33], v[80:81]
	v_fma_f64 v[0:1], v[72:73], s[6:7], v[0:1]
	v_mul_f64 v[8:9], v[125:126], s[26:27]
	v_add_f64 v[4:5], v[2:3], v[4:5]
	v_add_f64 v[16:17], v[2:3], v[16:17]
	v_fma_f64 v[24:25], v[44:45], s[18:19], -v[46:47]
	v_fma_f64 v[60:61], v[44:45], s[8:9], -v[48:49]
	v_add_f64 v[32:33], v[62:63], v[10:11]
	v_mul_f64 v[52:53], v[56:57], s[40:41]
	v_mul_f64 v[54:55], v[56:57], s[30:31]
	v_add_f64 v[82:83], v[18:19], v[82:83]
	v_add_f64 v[18:19], v[20:21], -v[28:29]
	v_add_f64 v[28:29], v[0:1], v[74:75]
	v_fma_f64 v[70:71], v[72:73], s[24:25], -v[8:9]
	v_add_f64 v[0:1], v[24:25], v[4:5]
	v_add_f64 v[4:5], v[60:61], v[16:17]
	v_fma_f64 v[60:61], v[32:33], s[16:17], -v[52:53]
	v_fma_f64 v[74:75], v[32:33], s[6:7], -v[54:55]
	v_add_f64 v[16:17], v[30:31], v[22:23]
	v_mul_f64 v[20:21], v[18:19], s[30:31]
	v_mul_f64 v[24:25], v[18:19], s[22:23]
	v_fma_f64 v[136:137], v[72:73], s[24:25], v[8:9]
	v_add_f64 v[8:9], v[12:13], -v[36:37]
	v_mul_f64 v[36:37], v[125:126], s[40:41]
	v_mul_f64 v[125:126], v[125:126], s[14:15]
	v_add_f64 v[60:61], v[60:61], v[0:1]
	v_add_f64 v[74:75], v[74:75], v[4:5]
	v_fma_f64 v[138:139], v[16:17], s[6:7], -v[20:21]
	v_fma_f64 v[140:141], v[16:17], s[18:19], -v[24:25]
	v_add_f64 v[0:1], v[38:39], v[14:15]
	v_mul_f64 v[4:5], v[8:9], s[26:27]
	v_mul_f64 v[12:13], v[8:9], s[40:41]
	v_fma_f64 v[142:143], v[72:73], s[16:17], -v[36:37]
	v_fma_f64 v[36:37], v[72:73], s[16:17], v[36:37]
	v_fma_f64 v[144:145], v[72:73], s[8:9], -v[125:126]
	v_fma_f64 v[72:73], v[72:73], s[8:9], v[125:126]
	v_add_f64 v[60:61], v[138:139], v[60:61]
	v_add_f64 v[74:75], v[140:141], v[74:75]
	v_fma_f64 v[125:126], v[0:1], s[24:25], -v[4:5]
	v_fma_f64 v[138:139], v[0:1], s[16:17], -v[12:13]
	v_add_f64 v[140:141], v[70:71], v[64:65]
	v_add_f64 v[86:87], v[142:143], v[86:87]
	;; [unrolled: 1-line block ×8, first 2 shown]
	v_add_u32_e32 v70, 0x6e, v134
	s_waitcnt lgkmcnt(0)
	s_barrier
	ds_write2_b64 v135, v[78:79], v[80:81] offset1:1
	ds_write2_b64 v135, v[82:83], v[140:141] offset0:2 offset1:3
	ds_write2_b64 v135, v[86:87], v[84:85] offset0:4 offset1:5
	;; [unrolled: 1-line block ×4, first 2 shown]
	ds_write_b64 v135, v[131:132] offset:80
	s_and_saveexec_b64 s[42:43], s[2:3]
	s_cbranch_execz .LBB0_21
; %bb.20:
	v_add_f64 v[6:7], v[6:7], v[2:3]
	v_mul_f64 v[36:37], v[34:35], s[24:25]
	v_mul_f64 v[85:86], v[68:69], s[30:31]
	;; [unrolled: 1-line block ×7, first 2 shown]
	v_add_f64 v[6:7], v[26:27], v[6:7]
	v_mul_f64 v[127:128], v[66:67], s[28:29]
	v_add_f64 v[36:37], v[36:37], v[42:43]
	v_fma_f64 v[139:140], v[34:35], s[16:17], -v[125:126]
	v_mul_f64 v[75:76], v[32:33], s[16:17]
	v_fma_f64 v[125:126], v[34:35], s[16:17], v[125:126]
	v_add_f64 v[28:29], v[28:29], v[40:41]
	v_fma_f64 v[40:41], v[34:35], s[18:19], -v[68:69]
	v_add_f64 v[6:7], v[10:11], v[6:7]
	v_mul_f64 v[10:11], v[66:67], s[26:27]
	v_mul_f64 v[66:67], v[66:67], s[34:35]
	;; [unrolled: 1-line block ×4, first 2 shown]
	v_add_f64 v[48:49], v[73:74], v[48:49]
	v_add_f64 v[36:37], v[2:3], v[36:37]
	v_mul_f64 v[129:130], v[56:57], s[14:15]
	v_add_f64 v[6:7], v[22:23], v[6:7]
	v_fma_f64 v[22:23], v[34:35], s[6:7], -v[85:86]
	v_fma_f64 v[85:86], v[34:35], s[6:7], v[85:86]
	v_mul_f64 v[56:57], v[56:57], s[26:27]
	v_fma_f64 v[42:43], v[44:45], s[16:17], v[127:128]
	v_add_f64 v[52:53], v[75:76], v[52:53]
	v_add_f64 v[28:29], v[2:3], v[28:29]
	;; [unrolled: 1-line block ×4, first 2 shown]
	v_fma_f64 v[14:15], v[34:35], s[18:19], v[68:69]
	v_fma_f64 v[34:35], v[44:45], s[16:17], -v[127:128]
	v_fma_f64 v[68:69], v[44:45], s[24:25], -v[10:11]
	v_add_f64 v[22:23], v[2:3], v[22:23]
	v_fma_f64 v[10:11], v[44:45], s[24:25], v[10:11]
	v_add_f64 v[75:76], v[2:3], v[85:86]
	v_add_f64 v[85:86], v[2:3], v[125:126]
	;; [unrolled: 1-line block ×3, first 2 shown]
	v_fma_f64 v[38:39], v[44:45], s[6:7], -v[66:67]
	v_fma_f64 v[44:45], v[44:45], s[6:7], v[66:67]
	v_mul_f64 v[137:138], v[18:19], s[36:37]
	v_add_f64 v[46:47], v[71:72], v[46:47]
	v_fma_f64 v[73:74], v[32:33], s[18:19], -v[131:132]
	v_add_f64 v[36:37], v[48:49], v[36:37]
	v_mul_f64 v[26:27], v[16:17], s[18:19]
	v_add_f64 v[6:7], v[30:31], v[6:7]
	v_add_f64 v[30:31], v[77:78], v[54:55]
	;; [unrolled: 1-line block ×5, first 2 shown]
	v_mul_f64 v[135:136], v[18:19], s[26:27]
	v_fma_f64 v[66:67], v[32:33], s[8:9], -v[129:130]
	v_fma_f64 v[71:72], v[32:33], s[8:9], v[129:130]
	v_fma_f64 v[127:128], v[32:33], s[18:19], v[131:132]
	v_fma_f64 v[54:55], v[32:33], s[24:25], -v[56:57]
	v_add_f64 v[34:35], v[68:69], v[77:78]
	v_add_f64 v[2:3], v[44:45], v[2:3]
	v_fma_f64 v[32:33], v[32:33], s[24:25], v[56:57]
	v_mul_f64 v[18:19], v[18:19], s[40:41]
	v_mul_f64 v[79:80], v[16:17], s[6:7]
	v_add_f64 v[28:29], v[46:47], v[28:29]
	v_add_f64 v[30:31], v[30:31], v[36:37]
	v_fma_f64 v[36:37], v[16:17], s[8:9], -v[137:138]
	v_add_f64 v[34:35], v[73:74], v[34:35]
	v_add_f64 v[10:11], v[10:11], v[85:86]
	;; [unrolled: 1-line block ×6, first 2 shown]
	v_fma_f64 v[40:41], v[16:17], s[24:25], -v[135:136]
	v_fma_f64 v[42:43], v[16:17], s[24:25], v[135:136]
	v_add_f64 v[2:3], v[32:33], v[2:3]
	v_fma_f64 v[32:33], v[16:17], s[8:9], v[137:138]
	v_add_f64 v[24:25], v[26:27], v[24:25]
	v_fma_f64 v[26:27], v[16:17], s[16:17], -v[18:19]
	v_fma_f64 v[16:17], v[16:17], s[16:17], v[18:19]
	v_mul_f64 v[18:19], v[8:9], s[22:23]
	v_add_f64 v[28:29], v[52:53], v[28:29]
	v_add_f64 v[20:21], v[79:80], v[20:21]
	;; [unrolled: 1-line block ×3, first 2 shown]
	v_mul_f64 v[36:37], v[8:9], s[34:35]
	v_add_f64 v[10:11], v[127:128], v[10:11]
	v_add_f64 v[38:39], v[54:55], v[38:39]
	v_mul_f64 v[8:9], v[8:9], s[14:15]
	v_mul_f64 v[83:84], v[0:1], s[16:17]
	;; [unrolled: 1-line block ×3, first 2 shown]
	v_add_f64 v[22:23], v[71:72], v[22:23]
	v_add_f64 v[6:7], v[50:51], v[6:7]
	;; [unrolled: 1-line block ×4, first 2 shown]
	v_fma_f64 v[16:17], v[0:1], s[18:19], -v[18:19]
	v_add_f64 v[20:21], v[20:21], v[28:29]
	v_fma_f64 v[28:29], v[0:1], s[6:7], -v[36:37]
	v_add_f64 v[10:11], v[32:33], v[10:11]
	v_add_f64 v[26:27], v[26:27], v[38:39]
	v_fma_f64 v[32:33], v[0:1], s[8:9], -v[8:9]
	v_add_f64 v[24:25], v[24:25], v[30:31]
	v_add_f64 v[12:13], v[83:84], v[12:13]
	v_fma_f64 v[8:9], v[0:1], s[8:9], v[8:9]
	v_fma_f64 v[30:31], v[0:1], s[6:7], v[36:37]
	v_add_f64 v[4:5], v[81:82], v[4:5]
	v_add_f64 v[22:23], v[42:43], v[22:23]
	v_fma_f64 v[0:1], v[0:1], s[18:19], v[18:19]
	v_add_f64 v[6:7], v[58:59], v[6:7]
	v_add_f64 v[14:15], v[16:17], v[14:15]
	;; [unrolled: 1-line block ×9, first 2 shown]
	s_movk_i32 s2, 0x58
	v_mad_u32_u24 v8, v70, s2, 0
	ds_write2_b64 v8, v[6:7], v[14:15] offset1:1
	ds_write2_b64 v8, v[16:17], v[60:61] offset0:2 offset1:3
	ds_write2_b64 v8, v[64:65], v[18:19] offset0:4 offset1:5
	;; [unrolled: 1-line block ×4, first 2 shown]
	ds_write_b64 v8, v[0:1] offset:80
.LBB0_21:
	s_or_b64 exec, exec, s[42:43]
	v_add_u32_e32 v8, 0x1c00, v124
	v_add_u32_e32 v12, 0x2000, v124
	s_waitcnt lgkmcnt(0)
	s_barrier
	v_add_u32_e32 v0, 0x1400, v124
	ds_read2_b64 v[16:19], v8 offset0:39 offset1:149
	v_add_u32_e32 v8, 0x400, v124
	ds_read2_b64 v[20:23], v12 offset0:131 offset1:241
	v_add_u32_e32 v12, 0xc00, v124
	v_add_u32_e32 v24, 0x2800, v124
	ds_read2_b64 v[4:7], v124 offset1:110
	ds_read2_b64 v[0:3], v0 offset0:20 offset1:185
	ds_read2_b64 v[8:11], v8 offset0:92 offset1:202
	;; [unrolled: 1-line block ×4, first 2 shown]
	s_and_saveexec_b64 s[2:3], s[0:1]
	s_cbranch_execz .LBB0_23
; %bb.22:
	ds_read_b64 v[60:61], v124 offset:6160
	ds_read_b64 v[64:65], v124 offset:12760
.LBB0_23:
	s_or_b64 exec, exec, s[2:3]
	s_movk_i32 s2, 0x75
	v_mul_lo_u16_sdwa v28, v134, s2 dst_sel:DWORD dst_unused:UNUSED_PAD src0_sel:BYTE_0 src1_sel:DWORD
	v_sub_u16_sdwa v29, v134, v28 dst_sel:DWORD dst_unused:UNUSED_PAD src0_sel:DWORD src1_sel:BYTE_1
	v_lshrrev_b16_e32 v29, 1, v29
	v_and_b32_e32 v29, 0x7f, v29
	v_add_u16_sdwa v28, v29, v28 dst_sel:DWORD dst_unused:UNUSED_PAD src0_sel:DWORD src1_sel:BYTE_1
	v_mul_lo_u16_sdwa v29, v70, s2 dst_sel:DWORD dst_unused:UNUSED_PAD src0_sel:BYTE_0 src1_sel:DWORD
	v_sub_u16_sdwa v30, v70, v29 dst_sel:DWORD dst_unused:UNUSED_PAD src0_sel:DWORD src1_sel:BYTE_1
	v_lshrrev_b16_e32 v30, 1, v30
	v_and_b32_e32 v30, 0x7f, v30
	v_lshrrev_b16_e32 v72, 3, v28
	v_add_u16_sdwa v29, v30, v29 dst_sel:DWORD dst_unused:UNUSED_PAD src0_sel:DWORD src1_sel:BYTE_1
	v_mul_lo_u16_e32 v28, 11, v72
	v_lshrrev_b16_e32 v74, 3, v29
	v_sub_u16_e32 v73, v134, v28
	v_mov_b32_e32 v28, 4
	v_mul_lo_u16_e32 v29, 11, v74
	v_add_u32_e32 v62, 0xdc, v134
	v_lshlrev_b32_sdwa v36, v28, v73 dst_sel:DWORD dst_unused:UNUSED_PAD src0_sel:DWORD src1_sel:BYTE_0
	v_sub_u16_e32 v75, v70, v29
	s_mov_b32 s2, 0xba2f
	v_lshlrev_b32_sdwa v37, v28, v75 dst_sel:DWORD dst_unused:UNUSED_PAD src0_sel:DWORD src1_sel:BYTE_0
	global_load_dwordx4 v[28:31], v36, s[12:13]
	global_load_dwordx4 v[32:35], v37, s[12:13]
	v_mul_u32_u24_sdwa v36, v62, s2 dst_sel:DWORD dst_unused:UNUSED_PAD src0_sel:WORD_0 src1_sel:DWORD
	v_lshrrev_b32_e32 v67, 19, v36
	v_add_u32_e32 v66, 0x14a, v134
	v_mul_lo_u16_e32 v36, 11, v67
	v_sub_u16_e32 v68, v62, v36
	v_mul_u32_u24_sdwa v36, v66, s2 dst_sel:DWORD dst_unused:UNUSED_PAD src0_sel:WORD_0 src1_sel:DWORD
	v_lshrrev_b32_e32 v69, 19, v36
	v_mul_lo_u16_e32 v36, 11, v69
	v_sub_u16_e32 v71, v66, v36
	v_add_u32_e32 v63, 0x1b8, v134
	v_add_u32_e32 v44, 0x226, v134
	v_lshlrev_b32_e32 v46, 4, v68
	v_lshlrev_b32_e32 v47, 4, v71
	global_load_dwordx4 v[36:39], v46, s[12:13]
	global_load_dwordx4 v[40:43], v47, s[12:13]
	v_mul_u32_u24_sdwa v46, v63, s2 dst_sel:DWORD dst_unused:UNUSED_PAD src0_sel:WORD_0 src1_sel:DWORD
	v_mul_u32_u24_sdwa v47, v44, s2 dst_sel:DWORD dst_unused:UNUSED_PAD src0_sel:WORD_0 src1_sel:DWORD
	v_lshrrev_b32_e32 v76, 19, v46
	v_lshrrev_b32_e32 v78, 19, v47
	v_mul_lo_u16_e32 v46, 11, v76
	v_mul_lo_u16_e32 v47, 11, v78
	v_sub_u16_e32 v77, v63, v46
	v_sub_u16_e32 v79, v44, v47
	v_add_u32_e32 v45, 0x294, v134
	v_lshlrev_b32_e32 v46, 4, v77
	v_lshlrev_b32_e32 v44, 4, v79
	global_load_dwordx4 v[48:51], v46, s[12:13]
	global_load_dwordx4 v[52:55], v44, s[12:13]
	v_mul_u32_u24_sdwa v44, v45, s2 dst_sel:DWORD dst_unused:UNUSED_PAD src0_sel:WORD_0 src1_sel:DWORD
	v_lshrrev_b32_e32 v80, 19, v44
	v_mul_lo_u16_e32 v44, 11, v80
	v_sub_u16_e32 v81, v45, v44
	v_lshlrev_b32_e32 v44, 4, v81
	global_load_dwordx4 v[56:59], v44, s[12:13]
	v_add_u32_e32 v44, 0x302, v134
	v_mul_u32_u24_sdwa v45, v44, s2 dst_sel:DWORD dst_unused:UNUSED_PAD src0_sel:WORD_0 src1_sel:DWORD
	v_lshrrev_b32_e32 v125, 19, v45
	v_mul_lo_u16_e32 v45, 11, v125
	v_sub_u16_e32 v126, v44, v45
	v_lshlrev_b32_e32 v44, 4, v126
	global_load_dwordx4 v[44:47], v44, s[12:13]
	v_mov_b32_e32 v82, 3
	v_mul_u32_u24_e32 v129, 0xb0, v72
	v_lshlrev_b32_sdwa v131, v82, v73 dst_sel:DWORD dst_unused:UNUSED_PAD src0_sel:DWORD src1_sel:BYTE_0
	v_mul_u32_u24_e32 v67, 0xb0, v67
	v_mul_u32_u24_e32 v69, 0xb0, v69
	;; [unrolled: 1-line block ×3, first 2 shown]
	v_lshlrev_b32_e32 v68, 3, v68
	v_lshlrev_b32_e32 v71, 3, v71
	;; [unrolled: 1-line block ×3, first 2 shown]
	v_mul_u32_u24_e32 v130, 0xb0, v74
	v_lshlrev_b32_sdwa v132, v82, v75 dst_sel:DWORD dst_unused:UNUSED_PAD src0_sel:DWORD src1_sel:BYTE_0
	v_mul_u32_u24_e32 v78, 0xb0, v78
	v_lshlrev_b32_e32 v79, 3, v79
	v_add3_u32 v67, 0, v67, v68
	v_add3_u32 v68, 0, v69, v71
	;; [unrolled: 1-line block ×4, first 2 shown]
	v_mul_u32_u24_e32 v127, 0xb0, v80
	v_lshlrev_b32_e32 v128, 3, v81
	s_waitcnt vmcnt(0) lgkmcnt(0)
	s_barrier
	v_mul_f64 v[72:73], v[2:3], v[30:31]
	v_mul_f64 v[74:75], v[16:17], v[34:35]
	v_fma_f64 v[72:73], v[102:103], v[28:29], v[72:73]
	v_fma_f64 v[74:75], v[88:89], v[32:33], v[74:75]
	v_mul_f64 v[76:77], v[18:19], v[38:39]
	v_mul_f64 v[78:79], v[20:21], v[42:43]
	v_add_f64 v[86:87], v[104:105], -v[72:73]
	v_add_f64 v[73:74], v[106:107], -v[74:75]
	v_add3_u32 v72, 0, v129, v131
	v_add3_u32 v75, 0, v130, v132
	v_fma_f64 v[76:77], v[90:91], v[36:37], v[76:77]
	v_fma_f64 v[78:79], v[92:93], v[40:41], v[78:79]
	v_fma_f64 v[104:105], v[104:105], 2.0, -v[86:87]
	v_fma_f64 v[106:107], v[106:107], 2.0, -v[73:74]
	v_mul_f64 v[80:81], v[22:23], v[50:51]
	v_mul_f64 v[82:83], v[24:25], v[54:55]
	v_add_f64 v[76:77], v[108:109], -v[76:77]
	v_add_f64 v[78:79], v[110:111], -v[78:79]
	v_mul_f64 v[84:85], v[26:27], v[58:59]
	v_fma_f64 v[80:81], v[94:95], v[48:49], v[80:81]
	v_fma_f64 v[82:83], v[96:97], v[52:53], v[82:83]
	v_fma_f64 v[108:109], v[108:109], 2.0, -v[76:77]
	v_fma_f64 v[110:111], v[110:111], 2.0, -v[78:79]
	v_fma_f64 v[84:85], v[98:99], v[56:57], v[84:85]
	v_add_f64 v[80:81], v[112:113], -v[80:81]
	v_add_f64 v[82:83], v[114:115], -v[82:83]
	v_add_f64 v[84:85], v[100:101], -v[84:85]
	v_fma_f64 v[112:113], v[112:113], 2.0, -v[80:81]
	v_fma_f64 v[114:115], v[114:115], 2.0, -v[82:83]
	ds_write2_b64 v72, v[104:105], v[86:87] offset1:11
	ds_write2_b64 v75, v[106:107], v[73:74] offset1:11
	;; [unrolled: 1-line block ×6, first 2 shown]
	v_add3_u32 v76, 0, v127, v128
	v_mul_lo_u16_e32 v73, 22, v125
	v_fma_f64 v[100:101], v[100:101], 2.0, -v[84:85]
	v_lshlrev_b32_e32 v74, 3, v126
	ds_write2_b64 v76, v[100:101], v[84:85] offset1:11
	s_and_saveexec_b64 s[2:3], s[0:1]
	s_cbranch_execz .LBB0_25
; %bb.24:
	v_mul_f64 v[77:78], v[64:65], v[46:47]
	v_lshlrev_b32_e32 v81, 3, v73
	v_add3_u32 v81, 0, v74, v81
	v_fma_f64 v[77:78], v[120:121], v[44:45], v[77:78]
	v_add_f64 v[77:78], v[122:123], -v[77:78]
	v_fma_f64 v[79:80], v[122:123], 2.0, -v[77:78]
	ds_write2_b64 v81, v[79:80], v[77:78] offset1:11
.LBB0_25:
	s_or_b64 exec, exec, s[2:3]
	v_mul_f64 v[30:31], v[102:103], v[30:31]
	v_mul_f64 v[34:35], v[88:89], v[34:35]
	;; [unrolled: 1-line block ×7, first 2 shown]
	s_waitcnt lgkmcnt(0)
	v_fma_f64 v[2:3], v[2:3], v[28:29], -v[30:31]
	v_fma_f64 v[16:17], v[16:17], v[32:33], -v[34:35]
	;; [unrolled: 1-line block ×7, first 2 shown]
	v_add_u32_e32 v30, 0xc00, v124
	v_add_f64 v[36:37], v[4:5], -v[2:3]
	v_add_f64 v[38:39], v[6:7], -v[16:17]
	v_add_f64 v[40:41], v[8:9], -v[18:19]
	v_add_f64 v[42:43], v[10:11], -v[20:21]
	v_add_f64 v[48:49], v[12:13], -v[22:23]
	v_add_f64 v[50:51], v[14:15], -v[24:25]
	v_add_f64 v[52:53], v[0:1], -v[26:27]
	v_add_u32_e32 v31, 0x2000, v124
	v_fma_f64 v[54:55], v[4:5], 2.0, -v[36:37]
	v_fma_f64 v[56:57], v[6:7], 2.0, -v[38:39]
	;; [unrolled: 1-line block ×3, first 2 shown]
	v_add_u32_e32 v32, 0x1400, v124
	v_add_u32_e32 v34, 0x400, v124
	;; [unrolled: 1-line block ×4, first 2 shown]
	v_fma_f64 v[77:78], v[10:11], 2.0, -v[42:43]
	v_fma_f64 v[79:80], v[12:13], 2.0, -v[48:49]
	;; [unrolled: 1-line block ×4, first 2 shown]
	s_barrier
	ds_read2_b64 v[8:11], v124 offset1:110
	ds_read2_b64 v[0:3], v30 offset0:56 offset1:166
	ds_read2_b64 v[12:15], v31 offset0:76 offset1:186
	;; [unrolled: 1-line block ×6, first 2 shown]
	ds_read_b64 v[28:29], v124 offset:12320
	s_waitcnt lgkmcnt(0)
	s_barrier
	ds_write2_b64 v72, v[54:55], v[36:37] offset1:11
	ds_write2_b64 v75, v[56:57], v[38:39] offset1:11
	;; [unrolled: 1-line block ×7, first 2 shown]
	s_and_saveexec_b64 s[2:3], s[0:1]
	s_cbranch_execz .LBB0_27
; %bb.26:
	v_mul_f64 v[36:37], v[120:121], v[46:47]
	v_lshlrev_b32_e32 v40, 3, v73
	v_add3_u32 v40, 0, v74, v40
	v_fma_f64 v[36:37], v[64:65], v[44:45], -v[36:37]
	v_add_f64 v[36:37], v[60:61], -v[36:37]
	v_fma_f64 v[38:39], v[60:61], 2.0, -v[36:37]
	ds_write2_b64 v40, v[38:39], v[36:37] offset1:11
.LBB0_27:
	s_or_b64 exec, exec, s[2:3]
	v_lshrrev_b16_e32 v36, 1, v134
	v_and_b32_e32 v36, 0x7f, v36
	v_mul_lo_u16_e32 v36, 0xbb, v36
	v_lshrrev_b16_e32 v69, 11, v36
	v_mul_lo_u16_e32 v36, 22, v69
	v_sub_u16_e32 v115, v134, v36
	v_mov_b32_e32 v60, 5
	v_lshlrev_b32_sdwa v44, v60, v115 dst_sel:DWORD dst_unused:UNUSED_PAD src0_sel:DWORD src1_sel:BYTE_0
	s_mov_b32 s0, 0xba2f
	s_waitcnt lgkmcnt(0)
	s_barrier
	global_load_dwordx4 v[36:39], v44, s[12:13] offset:192
	global_load_dwordx4 v[40:43], v44, s[12:13] offset:176
	v_mul_u32_u24_sdwa v44, v62, s0 dst_sel:DWORD dst_unused:UNUSED_PAD src0_sel:WORD_0 src1_sel:DWORD
	v_lshrrev_b32_e32 v133, 20, v44
	v_mul_lo_u16_e32 v44, 22, v133
	v_sub_u16_e32 v137, v62, v44
	v_lshlrev_b32_e32 v52, 5, v137
	global_load_dwordx4 v[44:47], v52, s[12:13] offset:192
	global_load_dwordx4 v[48:51], v52, s[12:13] offset:176
	v_mul_u32_u24_sdwa v52, v66, s0 dst_sel:DWORD dst_unused:UNUSED_PAD src0_sel:WORD_0 src1_sel:DWORD
	v_lshrrev_b32_e32 v138, 20, v52
	v_mul_lo_u16_e32 v52, 22, v138
	v_sub_u16_e32 v139, v66, v52
	v_lshlrev_b32_e32 v61, 5, v139
	;; [unrolled: 7-line block ×3, first 2 shown]
	global_load_dwordx4 v[63:66], v61, s[12:13] offset:192
	global_load_dwordx4 v[71:74], v61, s[12:13] offset:176
	v_mov_b32_e32 v61, 1
	v_lshrrev_b16_sdwa v61, v61, v70 dst_sel:DWORD dst_unused:UNUSED_PAD src0_sel:DWORD src1_sel:BYTE_0
	v_mul_lo_u16_e32 v61, 0xbb, v61
	v_lshrrev_b16_e32 v142, 11, v61
	v_mul_lo_u16_e32 v61, 22, v142
	v_sub_u16_e32 v143, v70, v61
	v_lshlrev_b32_sdwa v60, v60, v143 dst_sel:DWORD dst_unused:UNUSED_PAD src0_sel:DWORD src1_sel:BYTE_0
	global_load_dwordx4 v[75:78], v60, s[12:13] offset:176
	global_load_dwordx4 v[79:82], v60, s[12:13] offset:192
	ds_read2_b64 v[83:86], v124 offset1:110
	ds_read2_b64 v[87:90], v30 offset0:56 offset1:166
	ds_read2_b64 v[91:94], v31 offset0:76 offset1:186
	;; [unrolled: 1-line block ×6, first 2 shown]
	ds_read_b64 v[60:61], v124 offset:12320
	s_mov_b32 s0, 0xe8584caa
	s_mov_b32 s1, 0xbfebb67a
	s_mov_b32 s3, 0x3febb67a
	s_mov_b32 s2, s0
	s_waitcnt vmcnt(0) lgkmcnt(0)
	s_barrier
	s_mov_b32 s6, 0x4755a5e
	s_mov_b32 s7, 0xbfe2cf23
	;; [unrolled: 1-line block ×7, first 2 shown]
	v_mul_f64 v[129:130], v[91:92], v[38:39]
	v_mul_f64 v[127:128], v[89:90], v[42:43]
	;; [unrolled: 1-line block ×7, first 2 shown]
	v_fma_f64 v[2:3], v[2:3], v[40:41], v[127:128]
	v_fma_f64 v[12:13], v[12:13], v[36:37], v[129:130]
	v_mul_f64 v[46:47], v[24:25], v[46:47]
	v_mul_f64 v[120:121], v[105:106], v[54:55]
	;; [unrolled: 1-line block ×5, first 2 shown]
	v_fma_f64 v[18:19], v[18:19], v[48:49], v[67:68]
	v_fma_f64 v[48:49], v[97:98], v[48:49], -v[50:51]
	v_mul_f64 v[125:126], v[60:61], v[65:66]
	v_mul_f64 v[65:66], v[28:29], v[65:66]
	v_mul_f64 v[122:123], v[109:110], v[73:74]
	v_mul_f64 v[73:74], v[22:23], v[73:74]
	v_fma_f64 v[50:51], v[105:106], v[52:53], -v[54:55]
	v_fma_f64 v[40:41], v[89:90], v[40:41], -v[42:43]
	;; [unrolled: 1-line block ×3, first 2 shown]
	v_fma_f64 v[24:25], v[24:25], v[44:45], v[111:112]
	v_mul_f64 v[131:132], v[95:96], v[77:78]
	v_mul_f64 v[77:78], v[16:17], v[77:78]
	;; [unrolled: 1-line block ×4, first 2 shown]
	v_fma_f64 v[54:55], v[60:61], v[63:64], -v[65:66]
	v_add_f64 v[60:61], v[2:3], v[12:13]
	v_fma_f64 v[44:45], v[103:104], v[44:45], -v[46:47]
	v_fma_f64 v[46:47], v[107:108], v[56:57], -v[58:59]
	v_fma_f64 v[16:17], v[16:17], v[75:76], v[131:132]
	v_fma_f64 v[38:39], v[95:96], v[75:76], -v[77:78]
	v_fma_f64 v[14:15], v[14:15], v[79:80], v[135:136]
	;; [unrolled: 2-line block ×3, first 2 shown]
	v_fma_f64 v[22:23], v[22:23], v[71:72], v[122:123]
	v_fma_f64 v[52:53], v[109:110], v[71:72], -v[73:74]
	v_fma_f64 v[28:29], v[28:29], v[63:64], v[125:126]
	v_add_f64 v[58:59], v[8:9], v[2:3]
	v_add_f64 v[63:64], v[40:41], -v[36:37]
	v_add_f64 v[65:66], v[83:84], v[40:41]
	v_add_f64 v[40:41], v[40:41], v[36:37]
	;; [unrolled: 1-line block ×3, first 2 shown]
	v_add_f64 v[73:74], v[38:39], -v[42:43]
	v_add_f64 v[75:76], v[85:86], v[38:39]
	v_add_f64 v[38:39], v[38:39], v[42:43]
	v_fma_f64 v[8:9], v[60:61], -0.5, v[8:9]
	v_fma_f64 v[20:21], v[20:21], v[56:57], v[113:114]
	v_add_f64 v[56:57], v[18:19], v[24:25]
	v_add_f64 v[2:3], v[2:3], -v[12:13]
	v_add_f64 v[67:68], v[10:11], v[16:17]
	v_add_f64 v[16:17], v[16:17], -v[14:15]
	v_fma_f64 v[40:41], v[40:41], -0.5, v[83:84]
	v_add_f64 v[12:13], v[58:59], v[12:13]
	v_fma_f64 v[10:11], v[71:72], -0.5, v[10:11]
	v_add_f64 v[58:59], v[65:66], v[36:37]
	v_fma_f64 v[36:37], v[38:39], -0.5, v[85:86]
	v_fma_f64 v[38:39], v[63:64], s[0:1], v[8:9]
	v_fma_f64 v[8:9], v[63:64], s[2:3], v[8:9]
	v_add_f64 v[63:64], v[48:49], v[44:45]
	v_add_f64 v[65:66], v[4:5], v[18:19]
	v_fma_f64 v[4:5], v[56:57], -0.5, v[4:5]
	v_add_f64 v[56:57], v[48:49], -v[44:45]
	v_add_f64 v[14:15], v[67:68], v[14:15]
	v_fma_f64 v[60:61], v[2:3], s[2:3], v[40:41]
	v_fma_f64 v[40:41], v[2:3], s[0:1], v[40:41]
	;; [unrolled: 1-line block ×5, first 2 shown]
	v_add_f64 v[71:72], v[20:21], v[26:27]
	v_fma_f64 v[73:74], v[16:17], s[0:1], v[36:37]
	v_fma_f64 v[36:37], v[63:64], -0.5, v[99:100]
	v_add_f64 v[18:19], v[18:19], -v[24:25]
	v_add_f64 v[16:17], v[99:100], v[48:49]
	v_fma_f64 v[48:49], v[56:57], s[0:1], v[4:5]
	v_add_f64 v[63:64], v[6:7], v[20:21]
	v_fma_f64 v[56:57], v[56:57], s[2:3], v[4:5]
	v_add_f64 v[4:5], v[46:47], v[50:51]
	v_add_f64 v[42:43], v[75:76], v[42:43]
	v_fma_f64 v[6:7], v[71:72], -0.5, v[6:7]
	v_fma_f64 v[71:72], v[18:19], s[2:3], v[36:37]
	v_fma_f64 v[75:76], v[18:19], s[0:1], v[36:37]
	v_add_f64 v[18:19], v[22:23], v[28:29]
	v_add_f64 v[24:25], v[65:66], v[24:25]
	v_add_f64 v[65:66], v[46:47], -v[50:51]
	v_add_f64 v[44:45], v[16:17], v[44:45]
	v_add_f64 v[16:17], v[63:64], v[26:27]
	v_add_f64 v[63:64], v[52:53], v[54:55]
	v_add_f64 v[46:47], v[101:102], v[46:47]
	v_fma_f64 v[4:5], v[4:5], -0.5, v[101:102]
	v_add_f64 v[20:21], v[20:21], -v[26:27]
	v_add_f64 v[26:27], v[0:1], v[22:23]
	v_fma_f64 v[0:1], v[18:19], -0.5, v[0:1]
	v_add_f64 v[18:19], v[52:53], -v[54:55]
	v_fma_f64 v[36:37], v[65:66], s[0:1], v[6:7]
	v_fma_f64 v[6:7], v[65:66], s[2:3], v[6:7]
	v_add_f64 v[52:53], v[87:88], v[52:53]
	v_fma_f64 v[63:64], v[63:64], -0.5, v[87:88]
	v_add_f64 v[22:23], v[22:23], -v[28:29]
	v_add_f64 v[46:47], v[46:47], v[50:51]
	v_fma_f64 v[50:51], v[20:21], s[2:3], v[4:5]
	v_fma_f64 v[65:66], v[20:21], s[0:1], v[4:5]
	v_mov_b32_e32 v4, 3
	v_add_f64 v[20:21], v[26:27], v[28:29]
	v_fma_f64 v[26:27], v[18:19], s[0:1], v[0:1]
	v_fma_f64 v[0:1], v[18:19], s[2:3], v[0:1]
	v_mul_u32_u24_e32 v5, 0x210, v69
	v_lshlrev_b32_sdwa v18, v4, v115 dst_sel:DWORD dst_unused:UNUSED_PAD src0_sel:DWORD src1_sel:BYTE_0
	v_add3_u32 v5, 0, v5, v18
	ds_write2_b64 v5, v[12:13], v[38:39] offset1:22
	ds_write_b64 v5, v[8:9] offset:352
	v_mul_u32_u24_e32 v8, 0x210, v142
	v_lshlrev_b32_sdwa v9, v4, v143 dst_sel:DWORD dst_unused:UNUSED_PAD src0_sel:DWORD src1_sel:BYTE_0
	v_add3_u32 v12, 0, v8, v9
	ds_write2_b64 v12, v[14:15], v[2:3] offset1:22
	ds_write_b64 v12, v[10:11] offset:352
	v_mul_u32_u24_e32 v2, 0x210, v133
	v_lshlrev_b32_e32 v3, 3, v137
	v_add3_u32 v13, 0, v2, v3
	v_mul_u32_u24_e32 v2, 0x210, v138
	v_lshlrev_b32_e32 v3, 3, v139
	ds_write2_b64 v13, v[24:25], v[48:49] offset1:22
	ds_write_b64 v13, v[56:57] offset:352
	v_add3_u32 v48, 0, v2, v3
	v_mul_u32_u24_e32 v2, 0x210, v140
	v_lshlrev_b32_e32 v3, 3, v141
	v_add_f64 v[52:53], v[52:53], v[54:55]
	v_fma_f64 v[54:55], v[22:23], s[2:3], v[63:64]
	v_fma_f64 v[63:64], v[22:23], s[0:1], v[63:64]
	v_add3_u32 v49, 0, v2, v3
	s_movk_i32 s0, 0x42
	ds_write2_b64 v48, v[16:17], v[36:37] offset1:22
	ds_write_b64 v48, v[6:7] offset:352
	ds_write2_b64 v49, v[20:21], v[26:27] offset1:22
	ds_write_b64 v49, v[0:1] offset:352
	s_waitcnt lgkmcnt(0)
	s_barrier
	ds_read2_b64 v[6:9], v124 offset1:110
	ds_read2_b64 v[0:3], v34 offset0:92 offset1:202
	ds_read2_b64 v[14:17], v32 offset0:20 offset1:130
	;; [unrolled: 1-line block ×6, first 2 shown]
	ds_read_b64 v[10:11], v124 offset:12320
	s_waitcnt lgkmcnt(0)
	s_barrier
	ds_write2_b64 v5, v[58:59], v[60:61] offset1:22
	ds_write_b64 v5, v[40:41] offset:352
	ds_write2_b64 v12, v[42:43], v[67:68] offset1:22
	ds_write_b64 v12, v[73:74] offset:352
	;; [unrolled: 2-line block ×5, first 2 shown]
	v_add_u32_e32 v5, 0xffffffbe, v134
	v_cmp_gt_u32_e64 s[0:1], s0, v134
	v_cndmask_b32_e64 v5, v5, v134, s[0:1]
	v_lshlrev_b32_e32 v12, 2, v5
	v_mov_b32_e32 v13, 0
	v_lshlrev_b64 v[40:41], 4, v[12:13]
	v_mov_b32_e32 v12, s13
	v_add_co_u32_e64 v56, s[0:1], s12, v40
	v_addc_co_u32_e64 v57, s[0:1], v12, v41, s[0:1]
	s_waitcnt lgkmcnt(0)
	s_barrier
	global_load_dwordx4 v[40:43], v[56:57], off offset:880
	global_load_dwordx4 v[44:47], v[56:57], off offset:896
	;; [unrolled: 1-line block ×4, first 2 shown]
	s_movk_i32 s0, 0xf9
	v_mul_lo_u16_sdwa v12, v70, s0 dst_sel:DWORD dst_unused:UNUSED_PAD src0_sel:BYTE_0 src1_sel:DWORD
	v_lshrrev_b16_e32 v12, 14, v12
	v_mul_lo_u16_e32 v56, 0x42, v12
	v_sub_u16_e32 v69, v70, v56
	v_mov_b32_e32 v56, 6
	v_lshlrev_b32_sdwa v60, v56, v69 dst_sel:DWORD dst_unused:UNUSED_PAD src0_sel:DWORD src1_sel:BYTE_0
	global_load_dwordx4 v[56:59], v60, s[12:13] offset:880
	global_load_dwordx4 v[63:66], v60, s[12:13] offset:896
	;; [unrolled: 1-line block ×4, first 2 shown]
	s_mov_b32 s0, 0xf83f
	v_mul_u32_u24_sdwa v60, v62, s0 dst_sel:DWORD dst_unused:UNUSED_PAD src0_sel:WORD_0 src1_sel:DWORD
	v_lshrrev_b32_e32 v115, 22, v60
	v_mul_lo_u16_e32 v60, 0x42, v115
	v_sub_u16_e32 v133, v62, v60
	v_lshlrev_b32_e32 v60, 6, v133
	global_load_dwordx4 v[79:82], v60, s[12:13] offset:880
	global_load_dwordx4 v[83:86], v60, s[12:13] offset:896
	;; [unrolled: 1-line block ×4, first 2 shown]
	ds_read2_b64 v[95:98], v124 offset1:110
	ds_read2_b64 v[99:102], v34 offset0:92 offset1:202
	ds_read2_b64 v[103:106], v32 offset0:20 offset1:130
	;; [unrolled: 1-line block ×6, first 2 shown]
	ds_read_b64 v[67:68], v124 offset:12320
	s_mov_b32 s2, 0x134454ff
	s_mov_b32 s3, 0xbfee6f0e
	;; [unrolled: 1-line block ×3, first 2 shown]
	s_movk_i32 s0, 0x41
	v_cmp_lt_u32_e64 s[0:1], s0, v134
	v_lshlrev_b32_e32 v5, 3, v5
	v_lshlrev_b32_sdwa v4, v4, v69 dst_sel:DWORD dst_unused:UNUSED_PAD src0_sel:DWORD src1_sel:BYTE_0
	s_waitcnt vmcnt(0) lgkmcnt(0)
	s_barrier
	v_mul_f64 v[60:61], v[101:102], v[42:43]
	v_mul_f64 v[42:43], v[2:3], v[42:43]
	;; [unrolled: 1-line block ×6, first 2 shown]
	v_fma_f64 v[2:3], v[2:3], v[40:41], v[60:61]
	v_mul_f64 v[60:61], v[111:112], v[54:55]
	v_mul_f64 v[54:55], v[22:23], v[54:55]
	v_fma_f64 v[40:41], v[101:102], v[40:41], -v[42:43]
	v_fma_f64 v[42:43], v[103:104], v[44:45], -v[46:47]
	v_mul_f64 v[46:47], v[120:121], v[58:59]
	v_fma_f64 v[14:15], v[14:15], v[44:45], v[129:130]
	v_fma_f64 v[20:21], v[20:21], v[48:49], v[131:132]
	v_fma_f64 v[44:45], v[109:110], v[48:49], -v[50:51]
	v_fma_f64 v[22:23], v[22:23], v[52:53], v[60:61]
	v_fma_f64 v[48:49], v[111:112], v[52:53], -v[54:55]
	v_mul_f64 v[50:51], v[26:27], v[58:59]
	v_mul_f64 v[52:53], v[105:106], v[65:66]
	;; [unrolled: 1-line block ×5, first 2 shown]
	v_fma_f64 v[26:27], v[26:27], v[56:57], v[46:47]
	v_mul_f64 v[46:47], v[113:114], v[77:78]
	v_mul_f64 v[65:66], v[24:25], v[77:78]
	v_fma_f64 v[50:51], v[120:121], v[56:57], -v[50:51]
	v_fma_f64 v[16:17], v[16:17], v[63:64], v[52:53]
	v_fma_f64 v[52:53], v[105:106], v[63:64], -v[54:55]
	v_fma_f64 v[36:37], v[36:37], v[71:72], v[58:59]
	v_fma_f64 v[54:55], v[125:126], v[71:72], -v[60:61]
	v_mul_f64 v[56:57], v[122:123], v[81:82]
	v_fma_f64 v[24:25], v[24:25], v[75:76], v[46:47]
	v_fma_f64 v[46:47], v[113:114], v[75:76], -v[65:66]
	v_mul_f64 v[60:61], v[107:108], v[85:86]
	v_add_f64 v[63:64], v[6:7], v[2:3]
	v_mul_f64 v[65:66], v[18:19], v[85:86]
	v_add_f64 v[71:72], v[14:15], v[20:21]
	v_mul_f64 v[58:59], v[28:29], v[81:82]
	v_fma_f64 v[28:29], v[28:29], v[79:80], v[56:57]
	v_mul_f64 v[56:57], v[127:128], v[89:90]
	v_mul_f64 v[73:74], v[38:39], v[89:90]
	v_fma_f64 v[18:19], v[18:19], v[83:84], v[60:61]
	v_add_f64 v[60:61], v[63:64], v[14:15]
	v_fma_f64 v[63:64], v[107:108], v[83:84], -v[65:66]
	v_fma_f64 v[65:66], v[71:72], -0.5, v[6:7]
	v_add_f64 v[71:72], v[40:41], -v[48:49]
	v_add_f64 v[81:82], v[2:3], v[22:23]
	v_fma_f64 v[58:59], v[122:123], v[79:80], -v[58:59]
	v_fma_f64 v[38:39], v[38:39], v[87:88], v[56:57]
	v_fma_f64 v[56:57], v[127:128], v[87:88], -v[73:74]
	v_mul_f64 v[73:74], v[67:68], v[93:94]
	v_mul_f64 v[75:76], v[10:11], v[93:94]
	v_add_f64 v[79:80], v[42:43], -v[44:45]
	v_fma_f64 v[77:78], v[71:72], s[2:3], v[65:66]
	v_add_f64 v[83:84], v[2:3], -v[14:15]
	v_add_f64 v[85:86], v[22:23], -v[20:21]
	v_fma_f64 v[6:7], v[81:82], -0.5, v[6:7]
	v_add_f64 v[60:61], v[60:61], v[20:21]
	v_fma_f64 v[10:11], v[10:11], v[91:92], v[73:74]
	v_fma_f64 v[67:68], v[67:68], v[91:92], -v[75:76]
	v_add_f64 v[81:82], v[42:43], v[44:45]
	v_fma_f64 v[73:74], v[79:80], s[6:7], v[77:78]
	v_add_f64 v[77:78], v[95:96], v[40:41]
	v_add_f64 v[75:76], v[83:84], v[85:86]
	v_fma_f64 v[65:66], v[71:72], s[8:9], v[65:66]
	v_fma_f64 v[83:84], v[79:80], s[8:9], v[6:7]
	v_add_f64 v[60:61], v[60:61], v[22:23]
	v_add_f64 v[85:86], v[14:15], -v[2:3]
	v_add_f64 v[87:88], v[20:21], -v[22:23]
	v_fma_f64 v[6:7], v[79:80], s[2:3], v[6:7]
	v_add_f64 v[77:78], v[77:78], v[42:43]
	v_fma_f64 v[81:82], v[81:82], -0.5, v[95:96]
	v_add_f64 v[2:3], v[2:3], -v[22:23]
	v_fma_f64 v[22:23], v[79:80], s[14:15], v[65:66]
	v_fma_f64 v[65:66], v[71:72], s[6:7], v[83:84]
	v_add_f64 v[83:84], v[40:41], v[48:49]
	v_add_f64 v[79:80], v[85:86], v[87:88]
	v_fma_f64 v[6:7], v[71:72], s[14:15], v[6:7]
	v_add_f64 v[71:72], v[77:78], v[44:45]
	v_add_f64 v[14:15], v[14:15], -v[20:21]
	v_fma_f64 v[77:78], v[2:3], s[8:9], v[81:82]
	v_fma_f64 v[20:21], v[75:76], s[16:17], v[73:74]
	;; [unrolled: 1-line block ×3, first 2 shown]
	v_fma_f64 v[73:74], v[83:84], -0.5, v[95:96]
	v_add_f64 v[83:84], v[8:9], v[26:27]
	v_fma_f64 v[65:66], v[79:80], s[16:17], v[65:66]
	v_fma_f64 v[6:7], v[79:80], s[16:17], v[6:7]
	v_add_f64 v[79:80], v[48:49], -v[44:45]
	v_fma_f64 v[75:76], v[14:15], s[14:15], v[77:78]
	v_add_f64 v[77:78], v[40:41], -v[42:43]
	v_fma_f64 v[81:82], v[2:3], s[2:3], v[81:82]
	v_add_f64 v[85:86], v[16:17], v[36:37]
	v_fma_f64 v[87:88], v[14:15], s[2:3], v[73:74]
	v_add_f64 v[40:41], v[42:43], -v[40:41]
	v_add_f64 v[42:43], v[44:45], -v[48:49]
	v_fma_f64 v[44:45], v[14:15], s[8:9], v[73:74]
	v_add_f64 v[73:74], v[83:84], v[16:17]
	v_add_f64 v[71:72], v[71:72], v[48:49]
	;; [unrolled: 1-line block ×3, first 2 shown]
	v_fma_f64 v[14:15], v[14:15], s[6:7], v[81:82]
	v_fma_f64 v[77:78], v[85:86], -0.5, v[8:9]
	v_add_f64 v[79:80], v[50:51], -v[46:47]
	v_fma_f64 v[81:82], v[2:3], s[14:15], v[87:88]
	v_add_f64 v[40:41], v[40:41], v[42:43]
	v_fma_f64 v[2:3], v[2:3], s[6:7], v[44:45]
	v_add_f64 v[42:43], v[26:27], v[24:25]
	v_add_f64 v[44:45], v[73:74], v[36:37]
	v_fma_f64 v[73:74], v[48:49], s[16:17], v[75:76]
	v_fma_f64 v[48:49], v[48:49], s[16:17], v[14:15]
	;; [unrolled: 1-line block ×3, first 2 shown]
	v_add_f64 v[75:76], v[52:53], -v[54:55]
	v_fma_f64 v[81:82], v[40:41], s[16:17], v[81:82]
	v_fma_f64 v[40:41], v[40:41], s[16:17], v[2:3]
	v_fma_f64 v[2:3], v[42:43], -0.5, v[8:9]
	v_add_f64 v[8:9], v[44:45], v[24:25]
	v_add_f64 v[42:43], v[26:27], -v[16:17]
	v_add_f64 v[44:45], v[24:25], -v[36:37]
	v_fma_f64 v[77:78], v[79:80], s[8:9], v[77:78]
	v_add_f64 v[83:84], v[97:98], v[50:51]
	v_fma_f64 v[14:15], v[75:76], s[6:7], v[14:15]
	v_add_f64 v[85:86], v[52:53], v[54:55]
	v_fma_f64 v[87:88], v[75:76], s[8:9], v[2:3]
	v_fma_f64 v[2:3], v[75:76], s[2:3], v[2:3]
	v_add_f64 v[89:90], v[16:17], -v[26:27]
	v_add_f64 v[42:43], v[42:43], v[44:45]
	v_fma_f64 v[44:45], v[75:76], s[14:15], v[77:78]
	v_add_f64 v[75:76], v[83:84], v[52:53]
	v_add_f64 v[91:92], v[36:37], -v[24:25]
	v_fma_f64 v[77:78], v[85:86], -0.5, v[97:98]
	v_add_f64 v[24:25], v[26:27], -v[24:25]
	v_fma_f64 v[26:27], v[79:80], s[6:7], v[87:88]
	v_fma_f64 v[2:3], v[79:80], s[14:15], v[2:3]
	;; [unrolled: 1-line block ×4, first 2 shown]
	v_add_f64 v[44:45], v[75:76], v[54:55]
	v_add_f64 v[75:76], v[50:51], v[46:47]
	v_add_f64 v[83:84], v[89:90], v[91:92]
	v_add_f64 v[16:17], v[16:17], -v[36:37]
	v_add_f64 v[36:37], v[18:19], v[38:39]
	v_add_f64 v[85:86], v[50:51], -v[52:53]
	v_add_f64 v[87:88], v[46:47], -v[54:55]
	v_fma_f64 v[79:80], v[24:25], s[8:9], v[77:78]
	v_add_f64 v[44:45], v[44:45], v[46:47]
	v_fma_f64 v[75:76], v[75:76], -0.5, v[97:98]
	v_fma_f64 v[26:27], v[83:84], s[16:17], v[26:27]
	v_fma_f64 v[2:3], v[83:84], s[16:17], v[2:3]
	v_add_f64 v[83:84], v[0:1], v[28:29]
	v_fma_f64 v[36:37], v[36:37], -0.5, v[0:1]
	v_add_f64 v[89:90], v[58:59], -v[67:68]
	v_add_f64 v[85:86], v[85:86], v[87:88]
	v_fma_f64 v[77:78], v[24:25], s[2:3], v[77:78]
	v_fma_f64 v[87:88], v[16:17], s[2:3], v[75:76]
	v_add_f64 v[50:51], v[52:53], -v[50:51]
	v_add_f64 v[46:47], v[54:55], -v[46:47]
	v_fma_f64 v[52:53], v[16:17], s[8:9], v[75:76]
	v_fma_f64 v[79:80], v[16:17], s[14:15], v[79:80]
	v_add_f64 v[54:55], v[83:84], v[18:19]
	v_fma_f64 v[75:76], v[89:90], s[2:3], v[36:37]
	v_add_f64 v[83:84], v[63:64], -v[56:57]
	v_add_f64 v[91:92], v[28:29], -v[18:19]
	;; [unrolled: 1-line block ×3, first 2 shown]
	v_fma_f64 v[16:17], v[16:17], s[6:7], v[77:78]
	v_add_f64 v[77:78], v[28:29], v[10:11]
	v_fma_f64 v[87:88], v[24:25], s[14:15], v[87:88]
	v_add_f64 v[46:47], v[50:51], v[46:47]
	v_fma_f64 v[24:25], v[24:25], s[6:7], v[52:53]
	v_add_f64 v[50:51], v[54:55], v[38:39]
	v_fma_f64 v[52:53], v[83:84], s[6:7], v[75:76]
	v_add_f64 v[54:55], v[91:92], v[93:94]
	v_fma_f64 v[75:76], v[85:86], s[16:17], v[79:80]
	v_fma_f64 v[0:1], v[77:78], -0.5, v[0:1]
	v_fma_f64 v[77:78], v[85:86], s[16:17], v[16:17]
	v_fma_f64 v[79:80], v[46:47], s[16:17], v[87:88]
	;; [unrolled: 1-line block ×3, first 2 shown]
	v_add_f64 v[46:47], v[63:64], v[56:57]
	v_add_f64 v[87:88], v[58:59], v[67:68]
	;; [unrolled: 1-line block ×3, first 2 shown]
	v_fma_f64 v[50:51], v[54:55], s[16:17], v[52:53]
	v_fma_f64 v[36:37], v[89:90], s[8:9], v[36:37]
	;; [unrolled: 1-line block ×3, first 2 shown]
	v_add_f64 v[85:86], v[18:19], -v[28:29]
	v_add_f64 v[91:92], v[38:39], -v[10:11]
	v_add_f64 v[93:94], v[99:100], v[58:59]
	v_fma_f64 v[46:47], v[46:47], -0.5, v[99:100]
	v_add_f64 v[10:11], v[28:29], -v[10:11]
	v_add_f64 v[18:19], v[18:19], -v[38:39]
	v_fma_f64 v[38:39], v[87:88], -0.5, v[99:100]
	v_fma_f64 v[0:1], v[83:84], s[2:3], v[0:1]
	v_fma_f64 v[28:29], v[83:84], s[14:15], v[36:37]
	;; [unrolled: 1-line block ×3, first 2 shown]
	v_add_f64 v[52:53], v[85:86], v[91:92]
	v_add_f64 v[83:84], v[93:94], v[63:64]
	v_fma_f64 v[85:86], v[10:11], s[8:9], v[46:47]
	v_add_f64 v[87:88], v[58:59], -v[63:64]
	v_fma_f64 v[46:47], v[10:11], s[2:3], v[46:47]
	v_fma_f64 v[93:94], v[18:19], s[2:3], v[38:39]
	v_add_f64 v[58:59], v[63:64], -v[58:59]
	v_add_f64 v[63:64], v[56:57], -v[67:68]
	v_fma_f64 v[38:39], v[18:19], s[8:9], v[38:39]
	v_add_f64 v[91:92], v[67:68], -v[56:57]
	v_fma_f64 v[0:1], v[89:90], s[14:15], v[0:1]
	v_add_f64 v[56:57], v[83:84], v[56:57]
	v_fma_f64 v[83:84], v[18:19], s[14:15], v[85:86]
	v_fma_f64 v[18:19], v[18:19], s[6:7], v[46:47]
	;; [unrolled: 1-line block ×3, first 2 shown]
	v_add_f64 v[58:59], v[58:59], v[63:64]
	v_fma_f64 v[10:11], v[10:11], s[6:7], v[38:39]
	v_add_f64 v[85:86], v[87:88], v[91:92]
	v_fma_f64 v[36:37], v[52:53], s[16:17], v[36:37]
	v_fma_f64 v[0:1], v[52:53], s[16:17], v[0:1]
	;; [unrolled: 1-line block ×3, first 2 shown]
	v_add_f64 v[38:39], v[56:57], v[67:68]
	v_fma_f64 v[46:47], v[58:59], s[16:17], v[46:47]
	v_fma_f64 v[56:57], v[58:59], s[16:17], v[10:11]
	v_mov_b32_e32 v10, 0xa50
	v_cndmask_b32_e64 v10, 0, v10, s[0:1]
	v_add3_u32 v58, 0, v10, v5
	v_mul_u32_u24_e32 v5, 0xa50, v12
	v_add3_u32 v12, 0, v5, v4
	ds_write2_b64 v58, v[60:61], v[20:21] offset1:66
	ds_write2_b64 v58, v[65:66], v[6:7] offset0:132 offset1:198
	ds_write_b64 v58, v[22:23] offset:2112
	ds_write2_b64 v12, v[8:9], v[14:15] offset1:66
	ds_write2_b64 v12, v[26:27], v[2:3] offset0:132 offset1:198
	ds_write_b64 v12, v[42:43] offset:2112
	v_mul_u32_u24_e32 v2, 0xa50, v115
	v_lshlrev_b32_e32 v3, 3, v133
	v_add3_u32 v42, 0, v2, v3
	v_fma_f64 v[54:55], v[85:86], s[16:17], v[18:19]
	ds_write2_b64 v42, v[16:17], v[50:51] offset1:66
	ds_write2_b64 v42, v[36:37], v[0:1] offset0:132 offset1:198
	ds_write_b64 v42, v[28:29] offset:2112
	s_waitcnt lgkmcnt(0)
	s_barrier
	ds_read2_b64 v[0:3], v124 offset1:110
	ds_read2_b64 v[4:7], v34 offset0:92 offset1:202
	ds_read2_b64 v[14:17], v32 offset0:20 offset1:130
	;; [unrolled: 1-line block ×6, first 2 shown]
	ds_read_b64 v[22:23], v124 offset:12320
	v_fma_f64 v[52:53], v[85:86], s[16:17], v[83:84]
	s_waitcnt lgkmcnt(0)
	s_barrier
	ds_write2_b64 v58, v[71:72], v[73:74] offset1:66
	ds_write2_b64 v58, v[81:82], v[40:41] offset0:132 offset1:198
	ds_write_b64 v58, v[48:49] offset:2112
	ds_write2_b64 v12, v[44:45], v[75:76] offset1:66
	ds_write2_b64 v12, v[79:80], v[24:25] offset0:132 offset1:198
	ds_write_b64 v12, v[77:78] offset:2112
	;; [unrolled: 3-line block ×3, first 2 shown]
	s_waitcnt lgkmcnt(0)
	s_barrier
	s_and_saveexec_b64 s[0:1], vcc
	s_cbranch_execz .LBB0_29
; %bb.28:
	v_lshlrev_b32_e32 v12, 2, v62
	v_lshlrev_b64 v[24:25], 4, v[12:13]
	v_mov_b32_e32 v90, s13
	v_add_co_u32_e32 v12, vcc, s12, v24
	v_addc_co_u32_e32 v34, vcc, v90, v25, vcc
	s_movk_i32 s0, 0x13f0
	v_add_co_u32_e32 v24, vcc, s0, v12
	v_addc_co_u32_e32 v25, vcc, 0, v34, vcc
	s_movk_i32 s1, 0x1000
	v_add_co_u32_e32 v54, vcc, s1, v12
	v_lshlrev_b32_e32 v12, 2, v70
	v_lshlrev_b64 v[42:43], 4, v[12:13]
	v_addc_co_u32_e32 v55, vcc, 0, v34, vcc
	v_add_co_u32_e32 v12, vcc, s12, v42
	v_addc_co_u32_e32 v58, vcc, v90, v43, vcc
	v_add_co_u32_e32 v56, vcc, s1, v12
	v_addc_co_u32_e32 v57, vcc, 0, v58, vcc
	global_load_dwordx4 v[34:37], v[24:25], off offset:32
	global_load_dwordx4 v[38:41], v[24:25], off offset:16
	;; [unrolled: 1-line block ×5, first 2 shown]
	v_add_co_u32_e32 v24, vcc, s0, v12
	v_addc_co_u32_e32 v25, vcc, 0, v58, vcc
	global_load_dwordx4 v[54:57], v[24:25], off offset:48
	v_add_u32_e32 v12, 0x1800, v124
	v_add_u32_e32 v62, 0xc00, v124
	;; [unrolled: 1-line block ×5, first 2 shown]
	ds_read_b64 v[108:109], v124 offset:12320
	ds_read2_b64 v[58:61], v12 offset0:112 offset1:222
	ds_read2_b64 v[62:65], v62 offset0:56 offset1:166
	;; [unrolled: 1-line block ×5, first 2 shown]
	global_load_dwordx4 v[78:81], v[24:25], off offset:32
	global_load_dwordx4 v[82:85], v[24:25], off offset:16
	v_lshlrev_b32_e32 v12, 2, v134
	v_lshlrev_b64 v[12:13], 4, v[12:13]
	v_mul_lo_u32 v91, s5, v118
	v_add_co_u32_e32 v24, vcc, s12, v12
	v_addc_co_u32_e32 v25, vcc, v90, v13, vcc
	v_mul_lo_u32 v92, s4, v119
	v_mad_u64_u32 v[106:107], s[4:5], s4, v118, 0
	v_add_co_u32_e32 v12, vcc, s0, v24
	v_addc_co_u32_e32 v13, vcc, 0, v25, vcc
	v_add_co_u32_e32 v24, vcc, s1, v24
	v_add_u32_e32 v86, 0x2800, v124
	v_addc_co_u32_e32 v25, vcc, 0, v25, vcc
	ds_read2_b64 v[86:89], v86 offset0:40 offset1:150
	v_add3_u32 v107, v107, v92, v91
	global_load_dwordx4 v[90:93], v[24:25], off offset:1008
	global_load_dwordx4 v[94:97], v[12:13], off offset:48
	;; [unrolled: 1-line block ×4, first 2 shown]
	s_mov_b32 s0, 0x634c0635
	s_movk_i32 s4, 0x672
	s_waitcnt vmcnt(11)
	v_mul_f64 v[24:25], v[32:33], v[36:37]
	s_waitcnt vmcnt(10)
	v_mul_f64 v[12:13], v[18:19], v[40:41]
	s_waitcnt lgkmcnt(5)
	v_mul_f64 v[40:41], v[58:59], v[40:41]
	s_waitcnt lgkmcnt(3)
	v_mul_f64 v[36:37], v[68:69], v[36:37]
	s_waitcnt vmcnt(8)
	v_mul_f64 v[112:113], v[28:29], v[48:49]
	s_waitcnt vmcnt(7)
	v_mul_f64 v[114:115], v[22:23], v[52:53]
	v_mul_f64 v[48:49], v[64:65], v[48:49]
	;; [unrolled: 1-line block ×4, first 2 shown]
	v_fma_f64 v[12:13], v[58:59], v[38:39], -v[12:13]
	v_fma_f64 v[38:39], v[18:19], v[38:39], v[40:41]
	v_fma_f64 v[40:41], v[32:33], v[34:35], v[36:37]
	v_fma_f64 v[18:19], v[68:69], v[34:35], -v[24:25]
	v_fma_f64 v[24:25], v[64:65], v[46:47], -v[112:113]
	;; [unrolled: 1-line block ×3, first 2 shown]
	v_fma_f64 v[46:47], v[28:29], v[46:47], v[48:49]
	v_fma_f64 v[48:49], v[22:23], v[50:51], v[52:53]
	v_fma_f64 v[50:51], v[62:63], v[42:43], -v[110:111]
	s_waitcnt vmcnt(6)
	v_mul_f64 v[34:35], v[10:11], v[56:57]
	v_add_f64 v[22:23], v[38:39], -v[40:41]
	v_add_f64 v[28:29], v[12:13], v[18:19]
	v_add_f64 v[52:53], v[12:13], -v[18:19]
	v_add_f64 v[64:65], v[24:25], v[32:33]
	;; [unrolled: 2-line block ×3, first 2 shown]
	v_add_f64 v[58:59], v[18:19], -v[32:33]
	v_add_f64 v[68:69], v[46:47], -v[48:49]
	s_waitcnt lgkmcnt(2)
	v_add_f64 v[114:115], v[24:25], v[70:71]
	v_fma_f64 v[28:29], v[28:29], -0.5, v[70:71]
	v_add_f64 v[110:111], v[24:25], -v[12:13]
	v_fma_f64 v[64:65], v[64:65], -0.5, v[70:71]
	v_add_f64 v[112:113], v[32:33], -v[18:19]
	v_fma_f64 v[108:109], v[108:109], -0.5, v[4:5]
	v_add_f64 v[118:119], v[38:39], -v[46:47]
	v_add_f64 v[70:71], v[40:41], -v[48:49]
	v_add_f64 v[120:121], v[24:25], -v[32:33]
	v_add_f64 v[36:37], v[36:37], v[58:59]
	v_add_f64 v[12:13], v[12:13], v[114:115]
	v_fma_f64 v[24:25], v[68:69], s[2:3], v[28:29]
	v_fma_f64 v[28:29], v[68:69], s[8:9], v[28:29]
	;; [unrolled: 1-line block ×5, first 2 shown]
	v_add_f64 v[110:111], v[110:111], v[112:113]
	v_add_f64 v[70:71], v[118:119], v[70:71]
	;; [unrolled: 1-line block ×3, first 2 shown]
	v_fma_f64 v[18:19], v[22:23], s[6:7], v[24:25]
	v_fma_f64 v[22:23], v[22:23], s[14:15], v[28:29]
	;; [unrolled: 1-line block ×5, first 2 shown]
	v_add_f64 v[68:69], v[38:39], v[40:41]
	v_fma_f64 v[108:109], v[52:53], s[8:9], v[108:109]
	v_add_f64 v[32:33], v[32:33], v[12:13]
	v_fma_f64 v[12:13], v[110:111], s[16:17], v[18:19]
	v_fma_f64 v[28:29], v[110:111], s[16:17], v[22:23]
	v_fma_f64 v[24:25], v[36:37], s[16:17], v[24:25]
	v_fma_f64 v[18:19], v[36:37], s[16:17], v[58:59]
	v_fma_f64 v[22:23], v[70:71], s[16:17], v[64:65]
	s_waitcnt vmcnt(4) lgkmcnt(1)
	v_mul_f64 v[36:37], v[76:77], v[84:85]
	v_mul_f64 v[58:59], v[66:67], v[80:81]
	s_waitcnt lgkmcnt(0)
	v_fma_f64 v[64:65], v[88:89], v[54:55], -v[34:35]
	v_mul_f64 v[84:85], v[16:17], v[84:85]
	v_mul_f64 v[80:81], v[30:31], v[80:81]
	v_add_f64 v[110:111], v[46:47], -v[38:39]
	v_fma_f64 v[68:69], v[68:69], -0.5, v[4:5]
	v_add_f64 v[4:5], v[4:5], v[46:47]
	v_fma_f64 v[112:113], v[16:17], v[82:83], v[36:37]
	v_fma_f64 v[58:59], v[30:31], v[78:79], v[58:59]
	v_add_f64 v[16:17], v[50:51], v[64:65]
	v_mul_f64 v[30:31], v[62:63], v[44:45]
	v_mul_f64 v[44:45], v[88:89], v[56:57]
	ds_read2_b64 v[34:37], v124 offset1:110
	v_fma_f64 v[46:47], v[76:77], v[82:83], -v[84:85]
	v_fma_f64 v[56:57], v[66:67], v[78:79], -v[80:81]
	v_add_f64 v[4:5], v[38:39], v[4:5]
	v_add_f64 v[62:63], v[112:113], -v[58:59]
	s_waitcnt lgkmcnt(0)
	v_fma_f64 v[16:17], v[16:17], -0.5, v[36:37]
	v_fma_f64 v[66:67], v[26:27], v[42:43], v[30:31]
	v_fma_f64 v[54:55], v[10:11], v[54:55], v[44:45]
	v_add_f64 v[10:11], v[48:49], -v[40:41]
	v_fma_f64 v[26:27], v[120:121], s[8:9], v[68:69]
	v_fma_f64 v[30:31], v[120:121], s[2:3], v[68:69]
	v_add_f64 v[38:39], v[46:47], -v[50:51]
	v_add_f64 v[42:43], v[56:57], -v[64:65]
	v_fma_f64 v[44:45], v[62:63], s[8:9], v[16:17]
	v_add_f64 v[4:5], v[4:5], v[40:41]
	v_add_f64 v[68:69], v[66:67], -v[54:55]
	v_add_f64 v[76:77], v[110:111], v[10:11]
	v_fma_f64 v[10:11], v[62:63], s[2:3], v[16:17]
	v_fma_f64 v[26:27], v[52:53], s[14:15], v[26:27]
	;; [unrolled: 1-line block ×3, first 2 shown]
	v_add_f64 v[40:41], v[38:39], v[42:43]
	v_add_f64 v[38:39], v[46:47], v[56:57]
	;; [unrolled: 1-line block ×3, first 2 shown]
	v_fma_f64 v[42:43], v[68:69], s[6:7], v[44:45]
	v_fma_f64 v[108:109], v[120:121], s[6:7], v[108:109]
	;; [unrolled: 1-line block ×5, first 2 shown]
	v_add_f64 v[30:31], v[4:5], v[48:49]
	v_fma_f64 v[4:5], v[38:39], -0.5, v[36:37]
	v_add_f64 v[36:37], v[50:51], v[36:37]
	v_fma_f64 v[38:39], v[40:41], s[16:17], v[42:43]
	v_add_f64 v[48:49], v[46:47], -v[56:57]
	v_fma_f64 v[42:43], v[40:41], s[16:17], v[44:45]
	v_fma_f64 v[44:45], v[52:53], -0.5, v[2:3]
	v_fma_f64 v[16:17], v[70:71], s[16:17], v[108:109]
	v_add_f64 v[40:41], v[50:51], -v[46:47]
	v_add_f64 v[52:53], v[64:65], -v[56:57]
	v_fma_f64 v[70:71], v[68:69], s[2:3], v[4:5]
	v_fma_f64 v[4:5], v[68:69], s[8:9], v[4:5]
	v_add_f64 v[36:37], v[46:47], v[36:37]
	v_add_f64 v[46:47], v[112:113], -v[66:67]
	v_add_f64 v[68:69], v[58:59], -v[54:55]
	v_add_f64 v[76:77], v[50:51], -v[64:65]
	v_fma_f64 v[50:51], v[48:49], s[2:3], v[44:45]
	v_fma_f64 v[44:45], v[48:49], s[8:9], v[44:45]
	v_add_f64 v[40:41], v[40:41], v[52:53]
	v_fma_f64 v[52:53], v[62:63], s[6:7], v[70:71]
	v_fma_f64 v[62:63], v[62:63], s[14:15], v[4:5]
	v_add_f64 v[70:71], v[112:113], v[58:59]
	v_add_f64 v[36:37], v[56:57], v[36:37]
	;; [unrolled: 1-line block ×3, first 2 shown]
	v_fma_f64 v[68:69], v[76:77], s[14:15], v[50:51]
	v_fma_f64 v[44:45], v[76:77], s[6:7], v[44:45]
	v_add_f64 v[78:79], v[66:67], -v[112:113]
	v_add_f64 v[80:81], v[54:55], -v[58:59]
	v_fma_f64 v[4:5], v[40:41], s[16:17], v[52:53]
	v_fma_f64 v[52:53], v[70:71], -0.5, v[2:3]
	v_fma_f64 v[46:47], v[40:41], s[16:17], v[62:63]
	v_add_f64 v[50:51], v[64:65], v[36:37]
	s_waitcnt vmcnt(3)
	v_mul_f64 v[62:63], v[6:7], v[92:93]
	v_fma_f64 v[36:37], v[56:57], s[16:17], v[68:69]
	v_fma_f64 v[40:41], v[56:57], s[16:17], v[44:45]
	s_waitcnt vmcnt(2)
	v_mul_f64 v[56:57], v[8:9], v[96:97]
	v_add_f64 v[44:45], v[78:79], v[80:81]
	v_fma_f64 v[64:65], v[76:77], s[8:9], v[52:53]
	s_waitcnt vmcnt(0)
	v_mul_f64 v[68:69], v[14:15], v[104:105]
	v_fma_f64 v[52:53], v[76:77], s[2:3], v[52:53]
	v_fma_f64 v[70:71], v[72:73], v[90:91], -v[62:63]
	v_mul_f64 v[62:63], v[20:21], v[100:101]
	v_mul_f64 v[76:77], v[74:75], v[104:105]
	;; [unrolled: 1-line block ×3, first 2 shown]
	v_fma_f64 v[56:57], v[86:87], v[94:95], -v[56:57]
	v_add_f64 v[2:3], v[2:3], v[66:67]
	v_fma_f64 v[66:67], v[74:75], v[102:103], -v[68:69]
	v_mul_f64 v[68:69], v[72:73], v[92:93]
	v_mul_f64 v[72:73], v[86:87], v[96:97]
	v_fma_f64 v[60:61], v[60:61], v[98:99], -v[62:63]
	v_fma_f64 v[14:15], v[14:15], v[102:103], v[76:77]
	v_fma_f64 v[20:21], v[20:21], v[98:99], v[78:79]
	v_add_f64 v[62:63], v[70:71], v[56:57]
	v_fma_f64 v[64:65], v[48:49], s[14:15], v[64:65]
	v_fma_f64 v[48:49], v[48:49], s[6:7], v[52:53]
	;; [unrolled: 1-line block ×4, first 2 shown]
	v_add_f64 v[8:9], v[66:67], v[60:61]
	v_add_f64 v[52:53], v[112:113], v[2:3]
	v_add_f64 v[72:73], v[14:15], -v[20:21]
	v_fma_f64 v[62:63], v[62:63], -0.5, v[34:35]
	v_add_f64 v[74:75], v[66:67], -v[70:71]
	v_add_f64 v[76:77], v[60:61], -v[56:57]
	v_fma_f64 v[2:3], v[44:45], s[16:17], v[64:65]
	v_add_f64 v[64:65], v[6:7], -v[68:69]
	v_fma_f64 v[8:9], v[8:9], -0.5, v[34:35]
	v_fma_f64 v[44:45], v[44:45], s[16:17], v[48:49]
	v_add_f64 v[48:49], v[52:53], v[58:59]
	v_fma_f64 v[52:53], v[72:73], s[8:9], v[62:63]
	v_fma_f64 v[58:59], v[72:73], s[2:3], v[62:63]
	v_add_f64 v[62:63], v[74:75], v[76:77]
	v_add_f64 v[74:75], v[70:71], -v[66:67]
	v_add_f64 v[76:77], v[56:57], -v[60:61]
	v_fma_f64 v[78:79], v[64:65], s[2:3], v[8:9]
	v_fma_f64 v[8:9], v[64:65], s[8:9], v[8:9]
	v_add_f64 v[34:35], v[70:71], v[34:35]
	v_fma_f64 v[52:53], v[64:65], s[6:7], v[52:53]
	v_fma_f64 v[58:59], v[64:65], s[14:15], v[58:59]
	v_add_f64 v[64:65], v[6:7], v[68:69]
	v_add_f64 v[70:71], v[70:71], -v[56:57]
	v_add_f64 v[74:75], v[74:75], v[76:77]
	v_fma_f64 v[76:77], v[72:73], s[6:7], v[78:79]
	v_fma_f64 v[72:73], v[72:73], s[14:15], v[8:9]
	v_add_f64 v[34:35], v[66:67], v[34:35]
	v_fma_f64 v[8:9], v[62:63], s[16:17], v[52:53]
	v_add_f64 v[78:79], v[66:67], -v[60:61]
	v_fma_f64 v[52:53], v[64:65], -0.5, v[0:1]
	v_add_f64 v[64:65], v[14:15], v[20:21]
	v_add_f64 v[48:49], v[48:49], v[54:55]
	v_fma_f64 v[54:55], v[62:63], s[16:17], v[58:59]
	v_fma_f64 v[62:63], v[74:75], s[16:17], v[72:73]
	v_add_f64 v[34:35], v[60:61], v[34:35]
	v_add_f64 v[60:61], v[14:15], -v[6:7]
	v_add_f64 v[72:73], v[20:21], -v[68:69]
	v_fma_f64 v[58:59], v[74:75], s[16:17], v[76:77]
	v_fma_f64 v[64:65], v[64:65], -0.5, v[0:1]
	v_add_f64 v[0:1], v[0:1], v[6:7]
	v_add_f64 v[76:77], v[6:7], -v[14:15]
	v_fma_f64 v[74:75], v[78:79], s[2:3], v[52:53]
	v_fma_f64 v[52:53], v[78:79], s[8:9], v[52:53]
	v_add_f64 v[80:81], v[68:69], -v[20:21]
	v_add_f64 v[66:67], v[56:57], v[34:35]
	v_add_f64 v[34:35], v[60:61], v[72:73]
	v_fma_f64 v[6:7], v[70:71], s[8:9], v[64:65]
	v_fma_f64 v[56:57], v[70:71], s[2:3], v[64:65]
	v_add_f64 v[0:1], v[14:15], v[0:1]
	v_mul_hi_u32 v72, v134, s0
	v_fma_f64 v[60:61], v[70:71], s[14:15], v[74:75]
	v_fma_f64 v[52:53], v[70:71], s[6:7], v[52:53]
	v_add_f64 v[64:65], v[76:77], v[80:81]
	v_fma_f64 v[14:15], v[78:79], s[14:15], v[6:7]
	v_lshrrev_b32_e32 v6, 7, v72
	v_mul_u32_u24_e32 v6, 0x14a, v6
	v_fma_f64 v[70:71], v[78:79], s[6:7], v[56:57]
	v_sub_u32_e32 v74, v134, v6
	v_add_f64 v[0:1], v[0:1], v[20:21]
	v_mad_u64_u32 v[72:73], s[2:3], s20, v74, 0
	v_fma_f64 v[6:7], v[34:35], s[16:17], v[60:61]
	v_fma_f64 v[56:57], v[64:65], s[16:17], v[14:15]
	v_mov_b32_e32 v20, v73
	v_mad_u64_u32 v[20:21], s[2:3], s21, v74, v[20:21]
	v_fma_f64 v[60:61], v[64:65], s[16:17], v[70:71]
	v_add_f64 v[64:65], v[0:1], v[68:69]
	v_lshlrev_b64 v[0:1], 4, v[106:107]
	v_fma_f64 v[52:53], v[34:35], s[16:17], v[52:53]
	v_mov_b32_e32 v73, v20
	v_mov_b32_e32 v14, s11
	v_add_co_u32_e32 v20, vcc, s10, v0
	v_add_u32_e32 v34, 0x14a, v74
	v_addc_co_u32_e32 v21, vcc, v14, v1, vcc
	v_mad_u64_u32 v[14:15], s[2:3], s20, v34, 0
	v_lshlrev_b64 v[0:1], 4, v[116:117]
	v_add_co_u32_e32 v68, vcc, v20, v0
	v_addc_co_u32_e32 v69, vcc, v21, v1, vcc
	v_mad_u64_u32 v[20:21], s[2:3], s21, v34, v[15:16]
	v_lshlrev_b64 v[0:1], 4, v[72:73]
	v_add_co_u32_e32 v0, vcc, v68, v0
	v_addc_co_u32_e32 v1, vcc, v69, v1, vcc
	v_mov_b32_e32 v15, v20
	v_add_u32_e32 v20, 0x294, v74
	global_store_dwordx4 v[0:1], v[64:67], off
	v_lshlrev_b64 v[0:1], 4, v[14:15]
	v_mad_u64_u32 v[14:15], s[2:3], s20, v20, 0
	v_add_co_u32_e32 v0, vcc, v68, v0
	v_mad_u64_u32 v[20:21], s[2:3], s21, v20, v[15:16]
	v_add_u32_e32 v21, 0x3de, v74
	v_mad_u64_u32 v[34:35], s[2:3], s20, v21, 0
	v_addc_co_u32_e32 v1, vcc, v69, v1, vcc
	v_mov_b32_e32 v15, v20
	global_store_dwordx4 v[0:1], v[60:63], off
	v_lshlrev_b64 v[0:1], 4, v[14:15]
	v_mov_b32_e32 v14, v35
	v_mad_u64_u32 v[14:15], s[2:3], s21, v21, v[14:15]
	v_add_u32_e32 v20, 0x528, v74
	v_add_co_u32_e32 v0, vcc, v68, v0
	v_mov_b32_e32 v35, v14
	v_mad_u64_u32 v[14:15], s[2:3], s20, v20, 0
	v_addc_co_u32_e32 v1, vcc, v69, v1, vcc
	v_mad_u64_u32 v[20:21], s[2:3], s21, v20, v[15:16]
	v_add_u32_e32 v21, 0x6e, v134
	global_store_dwordx4 v[0:1], v[52:55], off
	v_lshlrev_b64 v[0:1], 4, v[34:35]
	v_mul_hi_u32 v34, v21, s0
	v_add_co_u32_e32 v0, vcc, v68, v0
	v_addc_co_u32_e32 v1, vcc, v69, v1, vcc
	global_store_dwordx4 v[0:1], v[6:9], off
	v_mov_b32_e32 v15, v20
	v_lshrrev_b32_e32 v6, 7, v34
	v_mul_u32_u24_e32 v7, 0x14a, v6
	v_sub_u32_e32 v7, v21, v7
	v_lshlrev_b64 v[0:1], 4, v[14:15]
	v_mad_u32_u24 v14, v6, s4, v7
	v_mad_u64_u32 v[6:7], s[2:3], s20, v14, 0
	v_add_u32_e32 v15, 0x14a, v14
	v_add_co_u32_e32 v0, vcc, v68, v0
	v_mad_u64_u32 v[7:8], s[2:3], s21, v14, v[7:8]
	v_mad_u64_u32 v[8:9], s[2:3], s20, v15, 0
	v_addc_co_u32_e32 v1, vcc, v69, v1, vcc
	global_store_dwordx4 v[0:1], v[56:59], off
	v_lshlrev_b64 v[0:1], 4, v[6:7]
	v_mov_b32_e32 v6, v9
	v_mad_u64_u32 v[6:7], s[2:3], s21, v15, v[6:7]
	v_add_co_u32_e32 v0, vcc, v68, v0
	v_addc_co_u32_e32 v1, vcc, v69, v1, vcc
	v_mov_b32_e32 v9, v6
	global_store_dwordx4 v[0:1], v[48:51], off
	v_lshlrev_b64 v[0:1], 4, v[8:9]
	v_add_u32_e32 v8, 0x294, v14
	v_mad_u64_u32 v[6:7], s[2:3], s20, v8, 0
	v_add_u32_e32 v15, 0x3de, v14
	v_add_co_u32_e32 v0, vcc, v68, v0
	v_mad_u64_u32 v[7:8], s[2:3], s21, v8, v[7:8]
	v_mad_u64_u32 v[8:9], s[2:3], s20, v15, 0
	v_addc_co_u32_e32 v1, vcc, v69, v1, vcc
	global_store_dwordx4 v[0:1], v[44:47], off
	v_lshlrev_b64 v[0:1], 4, v[6:7]
	v_mov_b32_e32 v6, v9
	v_mad_u64_u32 v[6:7], s[2:3], s21, v15, v[6:7]
	v_add_co_u32_e32 v0, vcc, v68, v0
	v_addc_co_u32_e32 v1, vcc, v69, v1, vcc
	v_mov_b32_e32 v9, v6
	global_store_dwordx4 v[0:1], v[40:43], off
	v_lshlrev_b64 v[0:1], 4, v[8:9]
	v_add_u32_e32 v8, 0x528, v14
	v_mad_u64_u32 v[6:7], s[2:3], s20, v8, 0
	v_add_u32_e32 v9, 0xdc, v134
	v_mul_hi_u32 v14, v9, s0
	v_mad_u64_u32 v[7:8], s[0:1], s21, v8, v[7:8]
	v_add_co_u32_e32 v0, vcc, v68, v0
	v_lshrrev_b32_e32 v8, 7, v14
	v_mul_u32_u24_e32 v14, 0x14a, v8
	v_sub_u32_e32 v9, v9, v14
	v_addc_co_u32_e32 v1, vcc, v69, v1, vcc
	v_mad_u32_u24 v14, v8, s4, v9
	v_mad_u64_u32 v[8:9], s[0:1], s20, v14, 0
	global_store_dwordx4 v[0:1], v[36:39], off
	v_lshlrev_b64 v[0:1], 4, v[6:7]
	v_mov_b32_e32 v6, v9
	v_add_co_u32_e32 v0, vcc, v68, v0
	v_addc_co_u32_e32 v1, vcc, v69, v1, vcc
	global_store_dwordx4 v[0:1], v[2:5], off
	v_mad_u64_u32 v[6:7], s[0:1], s21, v14, v[6:7]
	v_add_u32_e32 v4, 0x14a, v14
	v_mad_u64_u32 v[2:3], s[0:1], s20, v4, 0
	v_mov_b32_e32 v9, v6
	v_add_u32_e32 v6, 0x294, v14
	v_mad_u64_u32 v[3:4], s[0:1], s21, v4, v[3:4]
	v_lshlrev_b64 v[0:1], 4, v[8:9]
	v_mad_u64_u32 v[4:5], s[0:1], s20, v6, 0
	v_add_co_u32_e32 v0, vcc, v68, v0
	v_addc_co_u32_e32 v1, vcc, v69, v1, vcc
	global_store_dwordx4 v[0:1], v[30:33], off
	v_lshlrev_b64 v[0:1], 4, v[2:3]
	v_mov_b32_e32 v2, v5
	v_mad_u64_u32 v[2:3], s[0:1], s21, v6, v[2:3]
	v_add_co_u32_e32 v0, vcc, v68, v0
	v_addc_co_u32_e32 v1, vcc, v69, v1, vcc
	v_mov_b32_e32 v5, v2
	global_store_dwordx4 v[0:1], v[26:29], off
	v_lshlrev_b64 v[0:1], 4, v[4:5]
	v_add_u32_e32 v4, 0x3de, v14
	v_mad_u64_u32 v[2:3], s[0:1], s20, v4, 0
	v_add_u32_e32 v6, 0x528, v14
	v_add_co_u32_e32 v0, vcc, v68, v0
	v_mad_u64_u32 v[3:4], s[0:1], s21, v4, v[3:4]
	v_mad_u64_u32 v[4:5], s[0:1], s20, v6, 0
	v_addc_co_u32_e32 v1, vcc, v69, v1, vcc
	global_store_dwordx4 v[0:1], v[16:19], off
	v_lshlrev_b64 v[0:1], 4, v[2:3]
	v_mov_b32_e32 v2, v5
	v_mad_u64_u32 v[2:3], s[0:1], s21, v6, v[2:3]
	v_add_co_u32_e32 v0, vcc, v68, v0
	v_addc_co_u32_e32 v1, vcc, v69, v1, vcc
	v_mov_b32_e32 v5, v2
	global_store_dwordx4 v[0:1], v[22:25], off
	v_lshlrev_b64 v[0:1], 4, v[4:5]
	v_add_co_u32_e32 v0, vcc, v68, v0
	v_addc_co_u32_e32 v1, vcc, v69, v1, vcc
	global_store_dwordx4 v[0:1], v[10:13], off
.LBB0_29:
	s_endpgm
	.section	.rodata,"a",@progbits
	.p2align	6, 0x0
	.amdhsa_kernel fft_rtc_back_len1650_factors_11_2_3_5_5_wgs_110_tpt_110_halfLds_dp_op_CI_CI_sbrr_dirReg
		.amdhsa_group_segment_fixed_size 0
		.amdhsa_private_segment_fixed_size 0
		.amdhsa_kernarg_size 104
		.amdhsa_user_sgpr_count 6
		.amdhsa_user_sgpr_private_segment_buffer 1
		.amdhsa_user_sgpr_dispatch_ptr 0
		.amdhsa_user_sgpr_queue_ptr 0
		.amdhsa_user_sgpr_kernarg_segment_ptr 1
		.amdhsa_user_sgpr_dispatch_id 0
		.amdhsa_user_sgpr_flat_scratch_init 0
		.amdhsa_user_sgpr_private_segment_size 0
		.amdhsa_uses_dynamic_stack 0
		.amdhsa_system_sgpr_private_segment_wavefront_offset 0
		.amdhsa_system_sgpr_workgroup_id_x 1
		.amdhsa_system_sgpr_workgroup_id_y 0
		.amdhsa_system_sgpr_workgroup_id_z 0
		.amdhsa_system_sgpr_workgroup_info 0
		.amdhsa_system_vgpr_workitem_id 0
		.amdhsa_next_free_vgpr 174
		.amdhsa_next_free_sgpr 44
		.amdhsa_reserve_vcc 1
		.amdhsa_reserve_flat_scratch 0
		.amdhsa_float_round_mode_32 0
		.amdhsa_float_round_mode_16_64 0
		.amdhsa_float_denorm_mode_32 3
		.amdhsa_float_denorm_mode_16_64 3
		.amdhsa_dx10_clamp 1
		.amdhsa_ieee_mode 1
		.amdhsa_fp16_overflow 0
		.amdhsa_exception_fp_ieee_invalid_op 0
		.amdhsa_exception_fp_denorm_src 0
		.amdhsa_exception_fp_ieee_div_zero 0
		.amdhsa_exception_fp_ieee_overflow 0
		.amdhsa_exception_fp_ieee_underflow 0
		.amdhsa_exception_fp_ieee_inexact 0
		.amdhsa_exception_int_div_zero 0
	.end_amdhsa_kernel
	.text
.Lfunc_end0:
	.size	fft_rtc_back_len1650_factors_11_2_3_5_5_wgs_110_tpt_110_halfLds_dp_op_CI_CI_sbrr_dirReg, .Lfunc_end0-fft_rtc_back_len1650_factors_11_2_3_5_5_wgs_110_tpt_110_halfLds_dp_op_CI_CI_sbrr_dirReg
                                        ; -- End function
	.section	.AMDGPU.csdata,"",@progbits
; Kernel info:
; codeLenInByte = 16980
; NumSgprs: 48
; NumVgprs: 174
; ScratchSize: 0
; MemoryBound: 1
; FloatMode: 240
; IeeeMode: 1
; LDSByteSize: 0 bytes/workgroup (compile time only)
; SGPRBlocks: 5
; VGPRBlocks: 43
; NumSGPRsForWavesPerEU: 48
; NumVGPRsForWavesPerEU: 174
; Occupancy: 1
; WaveLimiterHint : 1
; COMPUTE_PGM_RSRC2:SCRATCH_EN: 0
; COMPUTE_PGM_RSRC2:USER_SGPR: 6
; COMPUTE_PGM_RSRC2:TRAP_HANDLER: 0
; COMPUTE_PGM_RSRC2:TGID_X_EN: 1
; COMPUTE_PGM_RSRC2:TGID_Y_EN: 0
; COMPUTE_PGM_RSRC2:TGID_Z_EN: 0
; COMPUTE_PGM_RSRC2:TIDIG_COMP_CNT: 0
	.type	__hip_cuid_ed8355ae331441d8,@object ; @__hip_cuid_ed8355ae331441d8
	.section	.bss,"aw",@nobits
	.globl	__hip_cuid_ed8355ae331441d8
__hip_cuid_ed8355ae331441d8:
	.byte	0                               ; 0x0
	.size	__hip_cuid_ed8355ae331441d8, 1

	.ident	"AMD clang version 19.0.0git (https://github.com/RadeonOpenCompute/llvm-project roc-6.4.0 25133 c7fe45cf4b819c5991fe208aaa96edf142730f1d)"
	.section	".note.GNU-stack","",@progbits
	.addrsig
	.addrsig_sym __hip_cuid_ed8355ae331441d8
	.amdgpu_metadata
---
amdhsa.kernels:
  - .args:
      - .actual_access:  read_only
        .address_space:  global
        .offset:         0
        .size:           8
        .value_kind:     global_buffer
      - .offset:         8
        .size:           8
        .value_kind:     by_value
      - .actual_access:  read_only
        .address_space:  global
        .offset:         16
        .size:           8
        .value_kind:     global_buffer
      - .actual_access:  read_only
        .address_space:  global
        .offset:         24
        .size:           8
        .value_kind:     global_buffer
      - .actual_access:  read_only
        .address_space:  global
        .offset:         32
        .size:           8
        .value_kind:     global_buffer
      - .offset:         40
        .size:           8
        .value_kind:     by_value
      - .actual_access:  read_only
        .address_space:  global
        .offset:         48
        .size:           8
        .value_kind:     global_buffer
      - .actual_access:  read_only
        .address_space:  global
        .offset:         56
        .size:           8
        .value_kind:     global_buffer
      - .offset:         64
        .size:           4
        .value_kind:     by_value
      - .actual_access:  read_only
        .address_space:  global
        .offset:         72
        .size:           8
        .value_kind:     global_buffer
      - .actual_access:  read_only
        .address_space:  global
        .offset:         80
        .size:           8
        .value_kind:     global_buffer
      - .actual_access:  read_only
        .address_space:  global
        .offset:         88
        .size:           8
        .value_kind:     global_buffer
      - .actual_access:  write_only
        .address_space:  global
        .offset:         96
        .size:           8
        .value_kind:     global_buffer
    .group_segment_fixed_size: 0
    .kernarg_segment_align: 8
    .kernarg_segment_size: 104
    .language:       OpenCL C
    .language_version:
      - 2
      - 0
    .max_flat_workgroup_size: 110
    .name:           fft_rtc_back_len1650_factors_11_2_3_5_5_wgs_110_tpt_110_halfLds_dp_op_CI_CI_sbrr_dirReg
    .private_segment_fixed_size: 0
    .sgpr_count:     48
    .sgpr_spill_count: 0
    .symbol:         fft_rtc_back_len1650_factors_11_2_3_5_5_wgs_110_tpt_110_halfLds_dp_op_CI_CI_sbrr_dirReg.kd
    .uniform_work_group_size: 1
    .uses_dynamic_stack: false
    .vgpr_count:     174
    .vgpr_spill_count: 0
    .wavefront_size: 64
amdhsa.target:   amdgcn-amd-amdhsa--gfx906
amdhsa.version:
  - 1
  - 2
...

	.end_amdgpu_metadata
